;; amdgpu-corpus repo=ROCm/rocFFT kind=compiled arch=gfx950 opt=O3
	.text
	.amdgcn_target "amdgcn-amd-amdhsa--gfx950"
	.amdhsa_code_object_version 6
	.protected	bluestein_single_back_len1260_dim1_dp_op_CI_CI ; -- Begin function bluestein_single_back_len1260_dim1_dp_op_CI_CI
	.globl	bluestein_single_back_len1260_dim1_dp_op_CI_CI
	.p2align	8
	.type	bluestein_single_back_len1260_dim1_dp_op_CI_CI,@function
bluestein_single_back_len1260_dim1_dp_op_CI_CI: ; @bluestein_single_back_len1260_dim1_dp_op_CI_CI
; %bb.0:
	s_load_dwordx4 s[12:15], s[0:1], 0x28
	v_mul_u32_u24_e32 v1, 0x411, v0
	v_mov_b32_e32 v151, 0
	v_add_u32_sdwa v6, s2, v1 dst_sel:DWORD dst_unused:UNUSED_PAD src0_sel:DWORD src1_sel:WORD_1
	v_mov_b32_e32 v7, v151
	s_waitcnt lgkmcnt(0)
	v_cmp_gt_u64_e32 vcc, s[12:13], v[6:7]
	s_and_saveexec_b64 s[2:3], vcc
	s_cbranch_execz .LBB0_26
; %bb.1:
	s_load_dwordx4 s[4:7], s[0:1], 0x18
	s_load_dwordx4 s[8:11], s[0:1], 0x0
	v_mov_b32_e32 v2, s14
	v_mov_b32_e32 v3, s15
	;; [unrolled: 1-line block ×3, first 2 shown]
	s_waitcnt lgkmcnt(0)
	s_load_dwordx4 s[12:15], s[4:5], 0x0
	v_mul_lo_u16_sdwa v1, v1, v4 dst_sel:DWORD dst_unused:UNUSED_PAD src0_sel:WORD_1 src1_sel:DWORD
	v_sub_u16_e32 v150, v0, v1
	v_accvgpr_write_b32 a20, v6
	v_mov_b32_e32 v30, 0x2760
	s_waitcnt lgkmcnt(0)
	v_mad_u64_u32 v[0:1], s[2:3], s14, v6, 0
	v_mov_b32_e32 v4, v1
	v_mad_u64_u32 v[4:5], s[2:3], s15, v6, v[4:5]
	v_mov_b32_e32 v1, v4
	v_mad_u64_u32 v[4:5], s[2:3], s12, v150, 0
	v_mov_b32_e32 v6, v5
	v_mad_u64_u32 v[6:7], s[2:3], s13, v150, v[6:7]
	v_mov_b32_e32 v5, v6
	v_lshl_add_u64 v[0:1], v[0:1], 4, v[2:3]
	v_lshl_add_u64 v[4:5], v[4:5], 4, v[0:1]
	global_load_dwordx4 v[0:3], v[4:5], off
	v_lshlrev_b32_e32 v148, 4, v150
	v_mov_b32_e32 v149, v151
	v_mad_u64_u32 v[4:5], s[2:3], s12, v30, v[4:5]
	v_lshl_add_u64 v[24:25], s[8:9], 0, v[148:149]
	s_movk_i32 s3, 0x2000
	s_mul_i32 s2, s13, 0x2760
	v_add_co_u32_e32 v26, vcc, s3, v24
	global_load_dwordx4 v[46:49], v148, s[8:9]
	v_add_u32_e32 v5, s2, v5
	v_addc_co_u32_e32 v27, vcc, 0, v25, vcc
	v_mov_b32_e32 v31, 0xffffdc90
	s_mul_i32 s3, s13, 0xffffdc90
	global_load_dwordx4 v[42:45], v[26:27], off offset:1888
	v_mad_u64_u32 v[12:13], s[4:5], s12, v31, v[4:5]
	global_load_dwordx4 v[4:7], v[4:5], off
	s_sub_i32 s3, s3, s12
	v_add_u32_e32 v13, s3, v13
	global_load_dwordx4 v[8:11], v[12:13], off
	global_load_dwordx4 v[58:61], v148, s[8:9] offset:1008
	v_mad_u64_u32 v[16:17], s[4:5], s12, v30, v[12:13]
	v_add_u32_e32 v17, s2, v17
	global_load_dwordx4 v[68:71], v[26:27], off offset:2896
	global_load_dwordx4 v[12:15], v[16:17], off
	v_mad_u64_u32 v[16:17], s[4:5], s12, v31, v[16:17]
	v_add_u32_e32 v17, s3, v17
	global_load_dwordx4 v[20:23], v[16:17], off
	global_load_dwordx4 v[50:53], v148, s[8:9] offset:2016
	v_mad_u64_u32 v[28:29], s[4:5], s12, v30, v[16:17]
	v_add_u32_e32 v29, s2, v29
	global_load_dwordx4 v[54:57], v[26:27], off offset:3904
	global_load_dwordx4 v[16:19], v[28:29], off
	s_mov_b64 s[4:5], 0x7e
	v_lshl_add_u64 v[152:153], v[150:151], 0, s[4:5]
	s_load_dwordx4 s[4:7], s[6:7], 0x0
	global_load_dwordx4 v[72:75], v148, s[8:9] offset:3024
	global_load_dwordx4 v[64:67], v[26:27], off offset:880
	v_mad_u64_u32 v[32:33], s[14:15], s12, v31, v[28:29]
	s_movk_i32 s13, 0x3000
	v_add_u32_e32 v33, s3, v33
	global_load_dwordx4 v[26:29], v[32:33], off
	v_mad_u64_u32 v[40:41], s[14:15], s12, v30, v[32:33]
	v_add_u32_e32 v41, s2, v41
	global_load_dwordx4 v[32:35], v[40:41], off
	v_lshl_add_u64 v[88:89], v[150:151], 0, 63
	v_and_b32_e32 v89, 1, v150
	v_lshlrev_b32_e32 v133, 1, v88
	v_lshlrev_b32_e32 v134, 1, v152
	s_waitcnt vmcnt(14)
	v_accvgpr_write_b32 a8, v46
	v_mul_f64 v[36:37], v[2:3], v[48:49]
	v_mul_f64 v[38:39], v[0:1], v[48:49]
	v_fmac_f64_e32 v[36:37], v[0:1], v[46:47]
	v_fma_f64 v[38:39], v[2:3], v[46:47], -v[38:39]
	ds_write_b128 v148, v[36:39]
	s_waitcnt vmcnt(13)
	v_accvgpr_write_b32 a0, v42
	v_accvgpr_write_b32 a1, v43
	;; [unrolled: 1-line block ×3, first 2 shown]
	s_waitcnt vmcnt(12)
	v_mul_f64 v[0:1], v[6:7], v[44:45]
	v_mul_f64 v[2:3], v[4:5], v[44:45]
	v_fmac_f64_e32 v[0:1], v[4:5], v[42:43]
	v_fma_f64 v[2:3], v[6:7], v[42:43], -v[2:3]
	ds_write_b128 v148, v[0:3] offset:10080
	s_waitcnt vmcnt(10)
	v_mul_f64 v[0:1], v[10:11], v[60:61]
	v_mul_f64 v[2:3], v[8:9], v[60:61]
	v_fmac_f64_e32 v[0:1], v[8:9], v[58:59]
	v_fma_f64 v[2:3], v[10:11], v[58:59], -v[2:3]
	ds_write_b128 v148, v[0:3] offset:1008
	;; [unrolled: 6-line block ×4, first 2 shown]
	s_waitcnt vmcnt(4)
	v_mul_f64 v[0:1], v[18:19], v[56:57]
	v_mul_f64 v[2:3], v[16:17], v[56:57]
	v_fmac_f64_e32 v[0:1], v[16:17], v[54:55]
	v_add_co_u32_e32 v16, vcc, s13, v24
	v_mad_u64_u32 v[8:9], s[14:15], s12, v31, v[40:41]
	s_nop 0
	v_addc_co_u32_e32 v17, vcc, 0, v25, vcc
	global_load_dwordx4 v[122:125], v[16:17], off offset:816
	v_add_u32_e32 v9, s3, v9
	global_load_dwordx4 v[4:7], v[8:9], off
	global_load_dwordx4 v[118:121], v148, s[8:9] offset:4032
	v_mad_u64_u32 v[12:13], s[14:15], s12, v30, v[8:9]
	v_accvgpr_write_b32 a12, v50
	v_add_u32_e32 v13, s2, v13
	s_movk_i32 s13, 0x1000
	v_accvgpr_write_b32 a13, v51
	v_accvgpr_write_b32 a14, v52
	;; [unrolled: 1-line block ×3, first 2 shown]
	global_load_dwordx4 v[8:11], v[12:13], off
	global_load_dwordx4 v[92:95], v[16:17], off offset:1824
	v_mad_u64_u32 v[20:21], s[14:15], s12, v31, v[12:13]
	v_add_co_u32_e32 v52, vcc, s13, v24
	v_add_u32_e32 v21, s3, v21
	s_nop 0
	v_addc_co_u32_e32 v53, vcc, 0, v25, vcc
	global_load_dwordx4 v[12:15], v[20:21], off
	global_load_dwordx4 v[114:117], v[52:53], off offset:944
	v_mad_u64_u32 v[36:37], s[14:15], s12, v30, v[20:21]
	v_add_u32_e32 v37, s2, v37
	global_load_dwordx4 v[20:23], v[36:37], off
	global_load_dwordx4 v[110:113], v[16:17], off offset:2832
	v_mad_u64_u32 v[40:41], s[14:15], s12, v31, v[36:37]
	v_add_u32_e32 v41, s3, v41
	v_accvgpr_write_b32 a3, v45
	global_load_dwordx4 v[36:39], v[40:41], off
	global_load_dwordx4 v[106:109], v[52:53], off offset:1952
	v_mad_u64_u32 v[44:45], s[14:15], s12, v30, v[40:41]
	v_add_u32_e32 v45, s2, v45
	global_load_dwordx4 v[40:43], v[44:45], off
	global_load_dwordx4 v[102:105], v[16:17], off offset:3840
	v_mad_u64_u32 v[16:17], s[14:15], s12, v31, v[44:45]
	v_add_u32_e32 v17, s3, v17
	s_movk_i32 s13, 0x4000
	v_accvgpr_write_b32 a9, v47
	v_accvgpr_write_b32 a10, v48
	v_accvgpr_write_b32 a11, v49
	global_load_dwordx4 v[44:47], v[16:17], off
	global_load_dwordx4 v[98:101], v[52:53], off offset:2960
	v_mad_u64_u32 v[16:17], s[14:15], s12, v30, v[16:17]
	v_add_co_u32_e32 v24, vcc, s13, v24
	v_add_u32_e32 v17, s2, v17
	s_nop 0
	v_addc_co_u32_e32 v25, vcc, 0, v25, vcc
	v_accvgpr_write_b32 a4, v54
	global_load_dwordx4 v[48:51], v[16:17], off
	global_load_dwordx4 v[84:87], v[24:25], off offset:752
	v_accvgpr_write_b32 a5, v55
	v_accvgpr_write_b32 a6, v56
	;; [unrolled: 1-line block ×3, first 2 shown]
	v_fma_f64 v[2:3], v[18:19], v[54:55], -v[2:3]
	v_mad_u64_u32 v[54:55], s[14:15], s12, v31, v[16:17]
	v_add_u32_e32 v55, s3, v55
	global_load_dwordx4 v[16:19], v[54:55], off
	global_load_dwordx4 v[80:83], v[52:53], off offset:3968
	v_mad_u64_u32 v[56:57], s[14:15], s12, v30, v[54:55]
	v_accvgpr_write_b32 a26, v68
	v_add_u32_e32 v57, s2, v57
	v_accvgpr_write_b32 a27, v69
	v_accvgpr_write_b32 a28, v70
	;; [unrolled: 1-line block ×3, first 2 shown]
	global_load_dwordx4 v[52:55], v[56:57], off
	global_load_dwordx4 v[68:71], v[24:25], off offset:1760
	ds_write_b128 v148, v[0:3] offset:12096
	v_mad_u64_u32 v[0:1], s[14:15], s12, v31, v[56:57]
	v_accvgpr_write_b32 a22, v58
	v_add_u32_e32 v1, s3, v1
	v_accvgpr_write_b32 a23, v59
	v_accvgpr_write_b32 a24, v60
	;; [unrolled: 1-line block ×3, first 2 shown]
	global_load_dwordx4 v[56:59], v[0:1], off
	v_mad_u64_u32 v[0:1], s[12:13], s12, v30, v[0:1]
	v_add_u32_e32 v1, s2, v1
	global_load_dwordx4 v[60:63], v[0:1], off
	global_load_dwordx4 v[76:79], v[24:25], off offset:2768
	s_waitcnt vmcnt(25)
	v_mul_f64 v[0:1], v[28:29], v[74:75]
	v_mul_f64 v[2:3], v[26:27], v[74:75]
	v_fmac_f64_e32 v[0:1], v[26:27], v[72:73]
	v_fma_f64 v[2:3], v[28:29], v[72:73], -v[2:3]
	ds_write_b128 v148, v[0:3] offset:3024
	s_waitcnt vmcnt(23)
	v_mul_f64 v[0:1], v[34:35], v[124:125]
	v_mul_f64 v[2:3], v[32:33], v[124:125]
	v_fmac_f64_e32 v[0:1], v[32:33], v[122:123]
	v_fma_f64 v[2:3], v[34:35], v[122:123], -v[2:3]
	ds_write_b128 v148, v[0:3] offset:13104
	;; [unrolled: 6-line block ×9, first 2 shown]
	v_accvgpr_write_b32 a30, v72
	v_accvgpr_write_b32 a16, v64
	;; [unrolled: 1-line block ×5, first 2 shown]
	s_waitcnt vmcnt(7)
	v_mul_f64 v[2:3], v[50:51], v[86:87]
	v_mul_f64 v[4:5], v[48:49], v[86:87]
	v_fmac_f64_e32 v[2:3], v[48:49], v[84:85]
	v_fma_f64 v[4:5], v[50:51], v[84:85], -v[4:5]
	ds_write_b128 v148, v[2:5] offset:17136
	v_accvgpr_write_b32 a46, v84
	v_accvgpr_write_b32 a47, v85
	v_accvgpr_write_b32 a48, v86
	s_waitcnt vmcnt(5)
	v_mul_f64 v[6:7], v[18:19], v[82:83]
	v_mul_f64 v[2:3], v[16:17], v[82:83]
	v_fmac_f64_e32 v[6:7], v[16:17], v[80:81]
	v_fma_f64 v[8:9], v[18:19], v[80:81], -v[2:3]
	ds_write_b128 v148, v[6:9] offset:8064
	v_accvgpr_write_b32 a42, v80
	v_accvgpr_write_b32 a49, v87
	v_accvgpr_write_b32 a43, v81
	;; [unrolled: 9-line block ×3, first 2 shown]
	v_accvgpr_write_b32 a35, v69
	s_waitcnt vmcnt(2)
	v_mul_f64 v[6:7], v[58:59], v[66:67]
	v_mul_f64 v[2:3], v[56:57], v[66:67]
	v_fmac_f64_e32 v[6:7], v[56:57], v[64:65]
	v_fma_f64 v[8:9], v[58:59], v[64:65], -v[2:3]
	ds_write_b128 v148, v[6:9] offset:9072
	s_waitcnt vmcnt(0)
	v_mul_f64 v[6:7], v[62:63], v[78:79]
	v_mul_f64 v[2:3], v[60:61], v[78:79]
	v_fmac_f64_e32 v[6:7], v[60:61], v[76:77]
	v_accvgpr_write_b32 a38, v76
	v_fma_f64 v[8:9], v[62:63], v[76:77], -v[2:3]
	v_accvgpr_write_b32 a36, v70
	v_accvgpr_write_b32 a37, v71
	;; [unrolled: 1-line block ×8, first 2 shown]
	ds_write_b128 v148, v[6:9] offset:19152
	s_waitcnt lgkmcnt(0)
	; wave barrier
	s_waitcnt lgkmcnt(0)
	ds_read_b128 v[6:9], v148
	ds_read_b128 v[10:13], v148 offset:1008
	ds_read_b128 v[14:17], v148 offset:10080
	;; [unrolled: 1-line block ×19, first 2 shown]
	s_waitcnt lgkmcnt(14)
	v_add_f64 v[14:15], v[6:7], -v[14:15]
	v_add_f64 v[16:17], v[8:9], -v[16:17]
	;; [unrolled: 1-line block ×4, first 2 shown]
	s_mov_b64 s[2:3], 0xbd
	v_fma_f64 v[6:7], v[6:7], 2.0, -v[14:15]
	v_fma_f64 v[8:9], v[8:9], 2.0, -v[16:17]
	;; [unrolled: 1-line block ×4, first 2 shown]
	s_waitcnt lgkmcnt(13)
	v_add_f64 v[30:31], v[22:23], -v[30:31]
	v_add_f64 v[32:33], v[24:25], -v[32:33]
	v_lshlrev_b32_e32 v86, 5, v150
	v_lshlrev_b32_e32 v2, 5, v88
	v_lshl_add_u64 v[90:91], v[150:151], 0, s[2:3]
	s_mov_b64 s[2:3], 0xfc
	v_fma_f64 v[22:23], v[22:23], 2.0, -v[30:31]
	v_fma_f64 v[24:25], v[24:25], 2.0, -v[32:33]
	s_waitcnt lgkmcnt(12)
	v_add_f64 v[34:35], v[26:27], -v[34:35]
	v_add_f64 v[36:37], v[28:29], -v[36:37]
	s_waitcnt lgkmcnt(0)
	; wave barrier
	s_waitcnt lgkmcnt(0)
	ds_write_b128 v86, v[6:9]
	ds_write_b128 v86, v[14:17] offset:16
	ds_write_b128 v2, v[10:13]
	scratch_store_dword off, v2, off        ; 4-byte Folded Spill
	ds_write_b128 v2, v[18:21] offset:16
	v_lshlrev_b32_e32 v2, 5, v152
	v_lshl_add_u64 v[96:97], v[150:151], 0, s[2:3]
	v_accvgpr_write_b32 a70, v92
	s_mov_b64 s[2:3], 0x13b
	v_fma_f64 v[26:27], v[26:27], 2.0, -v[34:35]
	v_fma_f64 v[28:29], v[28:29], 2.0, -v[36:37]
	v_add_f64 v[46:47], v[38:39], -v[46:47]
	v_add_f64 v[48:49], v[40:41], -v[48:49]
	ds_write_b128 v2, v[22:25]
	v_accvgpr_write_b32 a86, v2
	ds_write_b128 v2, v[30:33] offset:16
	v_lshlrev_b32_e32 v2, 5, v90
	v_accvgpr_write_b32 a71, v93
	v_accvgpr_write_b32 a72, v94
	;; [unrolled: 1-line block ×3, first 2 shown]
	v_lshl_add_u64 v[94:95], v[150:151], 0, s[2:3]
	s_mov_b64 s[2:3], 0x17a
	v_fma_f64 v[38:39], v[38:39], 2.0, -v[46:47]
	v_fma_f64 v[40:41], v[40:41], 2.0, -v[48:49]
	v_add_f64 v[50:51], v[42:43], -v[50:51]
	v_add_f64 v[52:53], v[44:45], -v[52:53]
	ds_write_b128 v2, v[26:29]
	v_accvgpr_write_b32 a87, v2
	ds_write_b128 v2, v[34:37] offset:16
	v_lshlrev_b32_e32 v2, 5, v96
	v_lshl_add_u64 v[92:93], v[150:151], 0, s[2:3]
	v_fma_f64 v[42:43], v[42:43], 2.0, -v[50:51]
	v_fma_f64 v[44:45], v[44:45], 2.0, -v[52:53]
	v_add_f64 v[62:63], v[54:55], -v[62:63]
	v_add_f64 v[64:65], v[56:57], -v[64:65]
	ds_write_b128 v2, v[38:41]
	v_accvgpr_write_b32 a88, v2
	ds_write_b128 v2, v[46:49] offset:16
	v_lshlrev_b32_e32 v2, 5, v94
	v_add_u32_e32 v0, 0x1b9, v150
	v_fma_f64 v[54:55], v[54:55], 2.0, -v[62:63]
	v_fma_f64 v[56:57], v[56:57], 2.0, -v[64:65]
	ds_write_b128 v2, v[42:45]
	v_accvgpr_write_b32 a89, v2
	ds_write_b128 v2, v[50:53] offset:16
	v_lshlrev_b32_e32 v2, 5, v92
	v_lshlrev_b32_e32 v4, 1, v150
	v_add_f64 v[66:67], v[58:59], -v[66:67]
	v_add_f64 v[68:69], v[60:61], -v[68:69]
	;; [unrolled: 1-line block ×4, first 2 shown]
	ds_write_b128 v2, v[54:57]
	v_accvgpr_write_b32 a90, v2
	ds_write_b128 v2, v[62:65] offset:16
	v_lshlrev_b32_e32 v2, 5, v0
	v_add_u32_e32 v1, 0x237, v150
	v_fma_f64 v[58:59], v[58:59], 2.0, -v[66:67]
	v_fma_f64 v[60:61], v[60:61], 2.0, -v[68:69]
	;; [unrolled: 1-line block ×4, first 2 shown]
	v_accvgpr_write_b32 a91, v2
	ds_write_b128 v2, v[66:69] offset:16
	v_add_u32_e32 v5, 0x3f0, v4
	v_lshlrev_b32_e32 v2, 4, v4
	v_add_f64 v[82:83], v[74:75], -v[82:83]
	v_add_f64 v[84:85], v[76:77], -v[84:85]
	ds_write_b128 v86, v[58:61] offset:14112
	v_lshlrev_b32_e32 v3, 4, v5
	ds_write_b128 v2, v[70:73] offset:16128
	v_lshlrev_b32_e32 v2, 5, v1
	v_fma_f64 v[74:75], v[74:75], 2.0, -v[82:83]
	v_fma_f64 v[76:77], v[76:77], 2.0, -v[84:85]
	ds_write_b128 v3, v[78:81] offset:16
	v_accvgpr_write_b32 a93, v2
	ds_write_b128 v2, v[82:85] offset:16
	v_lshlrev_b32_e32 v2, 4, v89
	ds_write_b128 v86, v[74:77] offset:18144
	s_waitcnt lgkmcnt(0)
	; wave barrier
	s_waitcnt lgkmcnt(0)
	v_and_b32_e32 v91, 1, v88
	global_load_dwordx4 v[80:83], v2, s[10:11]
	v_and_b32_e32 v93, 1, v1
	v_accvgpr_write_b32 a54, v102
	v_accvgpr_write_b32 a92, v3
	v_lshlrev_b32_e32 v2, 4, v91
	v_lshlrev_b32_e32 v3, 4, v93
	v_and_b32_e32 v95, 1, v90
	v_accvgpr_write_b32 a62, v110
	v_accvgpr_write_b32 a55, v103
	v_accvgpr_write_b32 a56, v104
	v_accvgpr_write_b32 a57, v105
	global_load_dwordx4 v[142:145], v3, s[10:11]
	global_load_dwordx2 v[104:105], v2, s[10:11]
	v_lshlrev_b32_e32 v2, 4, v95
	v_accvgpr_write_b32 a63, v111
	v_accvgpr_write_b32 a64, v112
	;; [unrolled: 1-line block ×3, first 2 shown]
	global_load_dwordx4 v[110:113], v2, s[10:11]
	v_and_b32_e32 v97, 1, v94
	v_accvgpr_write_b32 a74, v118
	v_accvgpr_write_b32 a66, v114
	v_lshlrev_b32_e32 v2, 4, v97
	v_accvgpr_write_b32 a75, v119
	v_accvgpr_write_b32 a76, v120
	;; [unrolled: 1-line block ×6, first 2 shown]
	global_load_dwordx4 v[116:119], v2, s[10:11]
	v_and_b32_e32 v132, 1, v0
	v_accvgpr_write_b32 a78, v122
	v_lshlrev_b32_e32 v2, 4, v132
	v_accvgpr_write_b32 a79, v123
	v_accvgpr_write_b32 a80, v124
	;; [unrolled: 1-line block ×3, first 2 shown]
	global_load_dwordx4 v[124:127], v2, s[10:11]
	global_load_dwordx2 v[130:131], v3, s[10:11] offset:8
	v_accvgpr_write_b32 a50, v98
	v_accvgpr_write_b32 a230, v86
	v_lshlrev_b32_e32 v139, 1, v0
	v_lshlrev_b32_e32 v140, 1, v1
	ds_read_b128 v[0:3], v148
	ds_read_b128 v[6:9], v148 offset:1008
	ds_read_b128 v[10:13], v148 offset:10080
	ds_read_b128 v[14:17], v148 offset:11088
	ds_read_b128 v[18:21], v148 offset:2016
	ds_read_b128 v[22:25], v148 offset:3024
	ds_read_b128 v[26:29], v148 offset:12096
	ds_read_b128 v[30:33], v148 offset:13104
	ds_read_b128 v[34:37], v148 offset:4032
	ds_read_b128 v[38:41], v148 offset:5040
	ds_read_b128 v[42:45], v148 offset:14112
	ds_read_b128 v[46:49], v148 offset:15120
	ds_read_b128 v[50:53], v148 offset:6048
	ds_read_b128 v[54:57], v148 offset:7056
	ds_read_b128 v[58:61], v148 offset:16128
	ds_read_b128 v[62:65], v148 offset:17136
	ds_read_b128 v[66:69], v148 offset:8064
	ds_read_b128 v[70:73], v148 offset:9072
	ds_read_b128 v[74:77], v148 offset:18144
	ds_read_b128 v[84:87], v148 offset:19152
	v_accvgpr_write_b32 a51, v99
	v_accvgpr_write_b32 a52, v100
	;; [unrolled: 1-line block ×7, first 2 shown]
	s_load_dwordx2 s[12:13], s[0:1], 0x38
	s_movk_i32 s0, 0x7c
	v_and_or_b32 v4, v4, s0, v89
	v_lshlrev_b32_e32 v4, 4, v4
	s_movk_i32 s0, 0xfc
	s_waitcnt lgkmcnt(0)
	; wave barrier
	s_waitcnt lgkmcnt(0)
	v_accvgpr_write_b32 a110, v4
	v_lshlrev_b32_e32 v135, 1, v90
	v_lshlrev_b32_e32 v136, 1, v96
	;; [unrolled: 1-line block ×3, first 2 shown]
	s_movk_i32 s1, 0x2fc
	v_lshlrev_b32_e32 v138, 1, v92
	v_cmp_gt_u16_e32 vcc, 42, v150
	s_waitcnt vmcnt(6)
	v_mul_f64 v[78:79], v[12:13], v[82:83]
	v_fma_f64 v[78:79], v[10:11], v[80:81], -v[78:79]
	v_mul_f64 v[98:99], v[10:11], v[82:83]
	v_fmac_f64_e32 v[98:99], v[12:13], v[80:81]
	v_add_f64 v[12:13], v[2:3], -v[98:99]
	v_mul_f64 v[106:107], v[26:27], v[82:83]
	v_fmac_f64_e32 v[106:107], v[28:29], v[80:81]
	s_waitcnt vmcnt(5)
	v_mul_f64 v[10:11], v[16:17], v[144:145]
	s_waitcnt vmcnt(4)
	v_fma_f64 v[100:101], v[14:15], v[104:105], -v[10:11]
	v_mul_f64 v[102:103], v[14:15], v[144:145]
	v_accvgpr_write_b32 a94, v104
	v_mul_f64 v[10:11], v[28:29], v[82:83]
	v_accvgpr_write_b32 a95, v105
	v_fmac_f64_e32 v[102:103], v[16:17], v[104:105]
	v_fma_f64 v[104:105], v[26:27], v[80:81], -v[10:11]
	s_waitcnt vmcnt(3)
	v_mul_f64 v[10:11], v[32:33], v[112:113]
	v_fma_f64 v[108:109], v[30:31], v[110:111], -v[10:11]
	v_mul_f64 v[30:31], v[30:31], v[112:113]
	v_mul_f64 v[10:11], v[44:45], v[82:83]
	v_accvgpr_write_b32 a96, v110
	v_fmac_f64_e32 v[30:31], v[32:33], v[110:111]
	v_fma_f64 v[32:33], v[42:43], v[80:81], -v[10:11]
	v_accvgpr_write_b32 a97, v111
	v_accvgpr_write_b32 a98, v112
	s_waitcnt vmcnt(2)
	v_mul_f64 v[10:11], v[48:49], v[118:119]
	v_accvgpr_write_b32 a99, v113
	v_fma_f64 v[112:113], v[46:47], v[116:117], -v[10:11]
	v_mul_f64 v[114:115], v[46:47], v[118:119]
	v_accvgpr_write_b32 a100, v116
	v_mul_f64 v[10:11], v[60:61], v[82:83]
	v_accvgpr_write_b32 a101, v117
	v_accvgpr_write_b32 a102, v118
	;; [unrolled: 1-line block ×3, first 2 shown]
	v_fmac_f64_e32 v[114:115], v[48:49], v[116:117]
	v_fma_f64 v[116:117], v[58:59], v[80:81], -v[10:11]
	s_waitcnt vmcnt(1)
	v_mul_f64 v[10:11], v[64:65], v[126:127]
	v_fma_f64 v[120:121], v[62:63], v[124:125], -v[10:11]
	v_mul_f64 v[122:123], v[62:63], v[126:127]
	v_accvgpr_write_b32 a104, v124
	v_mul_f64 v[10:11], v[76:77], v[82:83]
	v_accvgpr_write_b32 a105, v125
	v_accvgpr_write_b32 a106, v126
	;; [unrolled: 1-line block ×3, first 2 shown]
	v_fmac_f64_e32 v[122:123], v[64:65], v[124:125]
	v_fma_f64 v[124:125], v[74:75], v[80:81], -v[10:11]
	s_waitcnt vmcnt(0)
	v_mul_f64 v[10:11], v[86:87], v[130:131]
	v_fma_f64 v[128:129], v[84:85], v[142:143], -v[10:11]
	v_add_f64 v[10:11], v[0:1], -v[78:79]
	v_fma_f64 v[14:15], v[0:1], 2.0, -v[10:11]
	v_fma_f64 v[16:17], v[2:3], 2.0, -v[12:13]
	v_add_f64 v[26:27], v[6:7], -v[100:101]
	v_add_f64 v[28:29], v[8:9], -v[102:103]
	ds_write_b128 v4, v[14:17]
	ds_write_b128 v4, v[10:13] offset:32
	v_and_or_b32 v4, v133, s0, v91
	v_mul_f64 v[110:111], v[42:43], v[82:83]
	v_fma_f64 v[6:7], v[6:7], 2.0, -v[26:27]
	v_fma_f64 v[8:9], v[8:9], 2.0, -v[28:29]
	v_lshlrev_b32_e32 v4, 4, v4
	s_movk_i32 s0, 0x1fc
	v_fmac_f64_e32 v[110:111], v[44:45], v[80:81]
	v_add_f64 v[42:43], v[18:19], -v[104:105]
	v_add_f64 v[44:45], v[20:21], -v[106:107]
	ds_write_b128 v4, v[6:9]
	v_accvgpr_write_b32 a111, v4
	ds_write_b128 v4, v[26:29] offset:32
	v_and_or_b32 v4, v134, s0, v89
	v_fma_f64 v[18:19], v[18:19], 2.0, -v[42:43]
	v_fma_f64 v[20:21], v[20:21], 2.0, -v[44:45]
	v_lshlrev_b32_e32 v4, 4, v4
	v_add_f64 v[46:47], v[22:23], -v[108:109]
	v_add_f64 v[48:49], v[24:25], -v[30:31]
	ds_write_b128 v4, v[18:21]
	v_accvgpr_write_b32 a112, v4
	ds_write_b128 v4, v[42:45] offset:32
	v_and_or_b32 v4, v135, s0, v95
	v_mul_f64 v[118:119], v[58:59], v[82:83]
	v_fma_f64 v[22:23], v[22:23], 2.0, -v[46:47]
	v_fma_f64 v[24:25], v[24:25], 2.0, -v[48:49]
	v_lshlrev_b32_e32 v4, 4, v4
	s_movk_i32 s0, 0x3fc
	v_fmac_f64_e32 v[118:119], v[60:61], v[80:81]
	v_add_f64 v[58:59], v[34:35], -v[32:33]
	v_add_f64 v[60:61], v[36:37], -v[110:111]
	ds_write_b128 v4, v[22:25]
	v_accvgpr_write_b32 a113, v4
	ds_write_b128 v4, v[46:49] offset:32
	v_and_or_b32 v4, v136, s0, v89
	v_mul_f64 v[126:127], v[74:75], v[82:83]
	v_fma_f64 v[62:63], v[34:35], 2.0, -v[58:59]
	v_fma_f64 v[64:65], v[36:37], 2.0, -v[60:61]
	v_lshlrev_b32_e32 v4, 4, v4
	v_fmac_f64_e32 v[126:127], v[76:77], v[80:81]
	v_accvgpr_write_b32 a108, v130
	v_add_f64 v[74:75], v[38:39], -v[112:113]
	v_add_f64 v[76:77], v[40:41], -v[114:115]
	ds_write_b128 v4, v[62:65]
	v_accvgpr_write_b32 a114, v4
	ds_write_b128 v4, v[58:61] offset:32
	v_and_or_b32 v4, v137, s1, v97
	v_accvgpr_write_b32 a109, v131
	v_mul_f64 v[130:131], v[84:85], v[130:131]
	v_fma_f64 v[36:37], v[38:39], 2.0, -v[74:75]
	v_fma_f64 v[38:39], v[40:41], 2.0, -v[76:77]
	v_lshlrev_b32_e32 v4, 4, v4
	v_fmac_f64_e32 v[130:131], v[86:87], v[142:143]
	v_add_f64 v[84:85], v[50:51], -v[116:117]
	v_add_f64 v[86:87], v[52:53], -v[118:119]
	ds_write_b128 v4, v[36:39]
	v_accvgpr_write_b32 a115, v4
	ds_write_b128 v4, v[74:77] offset:32
	v_and_or_b32 v4, v138, s0, v89
	v_fma_f64 v[50:51], v[50:51], 2.0, -v[84:85]
	v_fma_f64 v[52:53], v[52:53], 2.0, -v[86:87]
	v_lshlrev_b32_e32 v4, 4, v4
	v_add_f64 v[98:99], v[54:55], -v[120:121]
	v_add_f64 v[100:101], v[56:57], -v[122:123]
	ds_write_b128 v4, v[50:53]
	v_accvgpr_write_b32 a116, v4
	ds_write_b128 v4, v[84:87] offset:32
	v_and_or_b32 v4, v139, s0, v132
	v_fma_f64 v[54:55], v[54:55], 2.0, -v[98:99]
	v_fma_f64 v[56:57], v[56:57], 2.0, -v[100:101]
	v_lshlrev_b32_e32 v4, 4, v4
	s_movk_i32 s0, 0x7fc
	v_add_f64 v[102:103], v[66:67], -v[124:125]
	v_add_f64 v[104:105], v[68:69], -v[126:127]
	ds_write_b128 v4, v[54:57]
	v_accvgpr_write_b32 a117, v4
	ds_write_b128 v4, v[98:101] offset:32
	v_and_or_b32 v4, v5, s0, v89
	v_fma_f64 v[66:67], v[66:67], 2.0, -v[102:103]
	v_fma_f64 v[68:69], v[68:69], 2.0, -v[104:105]
	v_lshlrev_b32_e32 v4, 4, v4
	s_movk_i32 s0, 0x4fc
	v_add_f64 v[32:33], v[70:71], -v[128:129]
	v_add_f64 v[34:35], v[72:73], -v[130:131]
	ds_write_b128 v4, v[66:69]
	v_accvgpr_write_b32 a118, v4
	ds_write_b128 v4, v[102:105] offset:32
	v_and_or_b32 v4, v140, s0, v93
	v_fma_f64 v[0:1], v[70:71], 2.0, -v[32:33]
	v_fma_f64 v[2:3], v[72:73], 2.0, -v[34:35]
	v_lshlrev_b32_e32 v4, 4, v4
	ds_write_b128 v4, v[0:3]
	ds_write_b128 v4, v[32:35] offset:32
	s_waitcnt lgkmcnt(0)
	; wave barrier
	s_waitcnt lgkmcnt(0)
	ds_read_b128 v[28:31], v148
	ds_read_b128 v[24:27], v148 offset:1008
	ds_read_b128 v[84:87], v148 offset:6720
	;; [unrolled: 1-line block ×17, first 2 shown]
	v_accvgpr_write_b32 a82, v142
	v_accvgpr_write_b32 a83, v143
	;; [unrolled: 1-line block ×5, first 2 shown]
                                        ; implicit-def: $vgpr4_vgpr5
	s_and_saveexec_b64 s[0:1], vcc
	s_cbranch_execz .LBB0_3
; %bb.2:
	ds_read_b128 v[0:3], v148 offset:6048
	ds_read_b128 v[32:35], v148 offset:12768
	;; [unrolled: 1-line block ×3, first 2 shown]
.LBB0_3:
	s_or_b64 exec, exec, s[0:1]
	v_and_b32_e32 v89, 3, v150
	v_lshlrev_b32_e32 v91, 5, v89
	global_load_dwordx4 v[100:103], v91, s[10:11] offset:48
	global_load_dwordx4 v[104:107], v91, s[10:11] offset:32
	v_and_b32_e32 v93, 3, v88
	v_and_b32_e32 v91, 3, v94
	v_lshlrev_b32_e32 v110, 5, v91
	v_and_b32_e32 v95, 3, v152
	v_and_b32_e32 v97, 3, v90
	s_mov_b32 s0, 0xe8584caa
	s_mov_b32 s1, 0x3febb67a
	;; [unrolled: 1-line block ×4, first 2 shown]
	global_load_dwordx4 v[112:115], v110, s[10:11] offset:32
	s_waitcnt vmcnt(1) lgkmcnt(14)
	v_mul_f64 v[98:99], v[86:87], v[106:107]
	v_fma_f64 v[98:99], v[84:85], v[104:105], -v[98:99]
	v_mul_f64 v[84:85], v[84:85], v[106:107]
	v_fmac_f64_e32 v[84:85], v[86:87], v[104:105]
	s_waitcnt lgkmcnt(13)
	v_mul_f64 v[86:87], v[78:79], v[102:103]
	v_fma_f64 v[86:87], v[76:77], v[100:101], -v[86:87]
	v_mul_f64 v[76:77], v[76:77], v[102:103]
	v_fmac_f64_e32 v[76:77], v[78:79], v[100:101]
	v_lshlrev_b32_e32 v78, 5, v93
	global_load_dwordx2 v[108:109], v78, s[10:11] offset:32
	global_load_dwordx4 v[120:123], v110, s[10:11] offset:40
	global_load_dwordx4 v[116:119], v110, s[10:11] offset:48
	s_waitcnt vmcnt(3)
	v_mul_f64 v[78:79], v[74:75], v[114:115]
	v_accvgpr_write_b32 a125, v115
	v_accvgpr_write_b32 a124, v114
	;; [unrolled: 1-line block ×4, first 2 shown]
	s_waitcnt vmcnt(2)
	v_fma_f64 v[78:79], v[72:73], v[108:109], -v[78:79]
	v_mul_f64 v[72:73], v[72:73], v[114:115]
	v_fmac_f64_e32 v[72:73], v[74:75], v[108:109]
	s_waitcnt vmcnt(0) lgkmcnt(12)
	v_mul_f64 v[74:75], v[70:71], v[118:119]
	v_fma_f64 v[74:75], v[68:69], v[122:123], -v[74:75]
	v_mul_f64 v[68:69], v[68:69], v[118:119]
	v_accvgpr_write_b32 a121, v109
	v_fmac_f64_e32 v[68:69], v[70:71], v[122:123]
	v_lshlrev_b32_e32 v70, 5, v95
	v_accvgpr_write_b32 a120, v108
	global_load_dwordx2 v[108:109], v70, s[10:11] offset:32
	v_and_b32_e32 v70, 3, v92
	v_lshlrev_b32_e32 v111, 5, v70
	global_load_dwordx4 v[124:127], v111, s[10:11] offset:32
	v_accvgpr_write_b32 a129, v119
	scratch_store_dword off, v70, off offset:4 ; 4-byte Folded Spill
	global_load_dwordx4 v[132:135], v111, s[10:11] offset:40
	global_load_dwordx4 v[128:131], v111, s[10:11] offset:48
	v_accvgpr_write_b32 a128, v118
	v_accvgpr_write_b32 a127, v117
	;; [unrolled: 1-line block ×7, first 2 shown]
	s_waitcnt vmcnt(4)
	v_accvgpr_write_b32 a135, v109
	v_accvgpr_write_b32 a134, v108
	s_waitcnt vmcnt(3) lgkmcnt(9)
	v_mul_f64 v[70:71], v[66:67], v[126:127]
	v_fma_f64 v[70:71], v[64:65], v[108:109], -v[70:71]
	v_mul_f64 v[64:65], v[64:65], v[126:127]
	v_fmac_f64_e32 v[64:65], v[66:67], v[108:109]
	s_waitcnt vmcnt(0) lgkmcnt(7)
	v_mul_f64 v[66:67], v[62:63], v[130:131]
	v_fma_f64 v[66:67], v[60:61], v[134:135], -v[66:67]
	v_mul_f64 v[60:61], v[60:61], v[130:131]
	v_fmac_f64_e32 v[60:61], v[62:63], v[134:135]
	v_lshlrev_b32_e32 v62, 5, v97
	global_load_dwordx4 v[136:139], v62, s[10:11] offset:48
	global_load_dwordx4 v[140:143], v62, s[10:11] offset:32
	v_accvgpr_write_b32 a147, v135
	v_accvgpr_write_b32 a139, v127
	;; [unrolled: 1-line block ×12, first 2 shown]
	s_waitcnt vmcnt(1) lgkmcnt(6)
	v_mul_f64 v[108:109], v[48:49], v[138:139]
	s_waitcnt vmcnt(0)
	v_mul_f64 v[62:63], v[58:59], v[142:143]
	v_fma_f64 v[62:63], v[56:57], v[140:141], -v[62:63]
	v_mul_f64 v[56:57], v[56:57], v[142:143]
	v_fmac_f64_e32 v[56:57], v[58:59], v[140:141]
	v_mul_f64 v[58:59], v[50:51], v[138:139]
	v_fmac_f64_e32 v[108:109], v[50:51], v[136:137]
	s_waitcnt lgkmcnt(3)
	v_mul_f64 v[50:51], v[52:53], v[106:107]
	v_fma_f64 v[58:59], v[48:49], v[136:137], -v[58:59]
	v_mul_f64 v[48:49], v[54:55], v[106:107]
	v_fmac_f64_e32 v[50:51], v[54:55], v[104:105]
	s_waitcnt lgkmcnt(1)
	v_mul_f64 v[54:55], v[44:45], v[102:103]
	v_fma_f64 v[48:49], v[52:53], v[104:105], -v[48:49]
	v_mul_f64 v[52:53], v[46:47], v[102:103]
	v_fmac_f64_e32 v[54:55], v[46:47], v[100:101]
	global_load_dwordx2 v[46:47], v110, s[10:11] offset:56
	v_fma_f64 v[52:53], v[44:45], v[100:101], -v[52:53]
	global_load_dwordx2 v[110:111], v111, s[10:11] offset:56
	v_mul_f64 v[44:45], v[42:43], v[120:121]
	v_fma_f64 v[44:45], v[40:41], v[112:113], -v[44:45]
	v_mul_f64 v[40:41], v[40:41], v[120:121]
	v_fmac_f64_e32 v[40:41], v[42:43], v[112:113]
	s_waitcnt lgkmcnt(0)
	; wave barrier
	s_waitcnt lgkmcnt(0)
	v_accvgpr_write_b32 a155, v143
	v_accvgpr_write_b32 a151, v139
	;; [unrolled: 1-line block ×8, first 2 shown]
	s_waitcnt vmcnt(1)
	v_mul_f64 v[42:43], v[38:39], v[46:47]
	v_accvgpr_write_b32 a157, v47
	v_fma_f64 v[42:43], v[36:37], v[116:117], -v[42:43]
	v_accvgpr_write_b32 a156, v46
	v_mul_f64 v[46:47], v[36:37], v[46:47]
	v_mul_f64 v[36:37], v[34:35], v[132:133]
	v_fmac_f64_e32 v[46:47], v[38:39], v[116:117]
	v_fma_f64 v[36:37], v[32:33], v[124:125], -v[36:37]
	v_mul_f64 v[38:39], v[32:33], v[132:133]
	s_waitcnt vmcnt(0)
	v_mul_f64 v[32:33], v[6:7], v[110:111]
	v_accvgpr_write_b32 a159, v111
	v_fmac_f64_e32 v[38:39], v[34:35], v[124:125]
	v_fma_f64 v[34:35], v[4:5], v[128:129], -v[32:33]
	v_accvgpr_write_b32 a158, v110
	v_mul_f64 v[110:111], v[4:5], v[110:111]
	v_add_f64 v[4:5], v[28:29], v[98:99]
	v_add_f64 v[112:113], v[4:5], v[86:87]
	v_add_f64 v[4:5], v[98:99], v[86:87]
	v_fmac_f64_e32 v[28:29], -0.5, v[4:5]
	v_add_f64 v[4:5], v[84:85], -v[76:77]
	v_fma_f64 v[116:117], s[0:1], v[4:5], v[28:29]
	v_fmac_f64_e32 v[28:29], s[2:3], v[4:5]
	v_add_f64 v[4:5], v[30:31], v[84:85]
	v_add_f64 v[114:115], v[4:5], v[76:77]
	v_add_f64 v[4:5], v[84:85], v[76:77]
	v_fmac_f64_e32 v[30:31], -0.5, v[4:5]
	v_add_f64 v[4:5], v[98:99], -v[86:87]
	v_fma_f64 v[118:119], s[2:3], v[4:5], v[30:31]
	v_fmac_f64_e32 v[30:31], s[0:1], v[4:5]
	;; [unrolled: 7-line block ×11, first 2 shown]
	v_add_f64 v[4:5], v[10:11], v[40:41]
	v_add_f64 v[50:51], v[4:5], v[46:47]
	;; [unrolled: 1-line block ×3, first 2 shown]
	v_fmac_f64_e32 v[110:111], v[6:7], v[128:129]
	v_fmac_f64_e32 v[10:11], -0.5, v[4:5]
	v_add_f64 v[4:5], v[44:45], -v[42:43]
	v_add_f64 v[6:7], v[36:37], v[34:35]
	v_fma_f64 v[54:55], s[2:3], v[4:5], v[10:11]
	v_fmac_f64_e32 v[10:11], s[0:1], v[4:5]
	v_add_f64 v[4:5], v[0:1], v[36:37]
	v_fmac_f64_e32 v[0:1], -0.5, v[6:7]
	v_add_f64 v[6:7], v[38:39], -v[110:111]
	v_fma_f64 v[32:33], s[0:1], v[6:7], v[0:1]
	v_fmac_f64_e32 v[0:1], s[2:3], v[6:7]
	v_add_f64 v[6:7], v[2:3], v[38:39]
	v_add_f64 v[38:39], v[38:39], v[110:111]
	v_fmac_f64_e32 v[2:3], -0.5, v[38:39]
	v_add_f64 v[36:37], v[36:37], -v[34:35]
	v_add_f64 v[4:5], v[4:5], v[34:35]
	v_fma_f64 v[34:35], s[2:3], v[36:37], v[2:3]
	v_fmac_f64_e32 v[2:3], s[0:1], v[36:37]
	v_lshrrev_b32_e32 v36, 2, v150
	v_mul_u32_u24_e32 v36, 12, v36
	v_or_b32_e32 v36, v36, v89
	v_lshlrev_b32_e32 v36, 4, v36
	ds_write_b128 v36, v[112:115]
	ds_write_b128 v36, v[116:119] offset:64
	ds_write_b128 v36, v[28:31] offset:128
	v_lshrrev_b32_e32 v28, 2, v88
	v_mul_u32_u24_e32 v28, 12, v28
	v_or_b32_e32 v28, v28, v93
	v_lshlrev_b32_e32 v28, 4, v28
	ds_write_b128 v28, v[84:87]
	ds_write_b128 v28, v[76:79] offset:64
	ds_write_b128 v28, v[24:27] offset:128
	;; [unrolled: 7-line block ×6, first 2 shown]
	v_lshrrev_b32_e32 v8, 2, v92
	v_add_f64 v[6:7], v[6:7], v[110:111]
	v_accvgpr_write_b32 a160, v36
	v_accvgpr_write_b32 a161, v28
	;; [unrolled: 1-line block ×7, first 2 shown]
	s_and_saveexec_b64 s[0:1], vcc
	s_cbranch_execz .LBB0_5
; %bb.4:
	v_accvgpr_read_b32 v8, a166
	v_mul_u32_u24_e32 v8, 12, v8
	v_and_b32_e32 v9, 3, v92
	v_or_b32_e32 v8, v8, v9
	v_lshlrev_b32_e32 v8, 4, v8
	ds_write_b128 v8, v[4:7]
	ds_write_b128 v8, v[32:35] offset:64
	ds_write_b128 v8, v[0:3] offset:128
.LBB0_5:
	s_or_b64 exec, exec, s[0:1]
	s_waitcnt lgkmcnt(0)
	; wave barrier
	s_waitcnt lgkmcnt(0)
	ds_read_b128 v[28:31], v148
	ds_read_b128 v[24:27], v148 offset:1008
	ds_read_b128 v[84:87], v148 offset:6720
	;; [unrolled: 1-line block ×17, first 2 shown]
	s_and_saveexec_b64 s[0:1], vcc
	s_cbranch_execz .LBB0_7
; %bb.6:
	ds_read_b128 v[4:7], v148 offset:6048
	ds_read_b128 v[32:35], v148 offset:12768
	;; [unrolled: 1-line block ×3, first 2 shown]
.LBB0_7:
	s_or_b64 exec, exec, s[0:1]
	s_movk_i32 s0, 0xab
	v_mul_lo_u16_sdwa v89, v150, s0 dst_sel:DWORD dst_unused:UNUSED_PAD src0_sel:BYTE_0 src1_sel:DWORD
	v_lshrrev_b16_e32 v89, 11, v89
	v_mul_lo_u16_e32 v91, 12, v89
	v_sub_u16_e32 v91, v150, v91
	v_and_b32_e32 v91, 0xff, v91
	v_lshlrev_b32_e32 v93, 5, v91
	global_load_dwordx4 v[108:111], v93, s[10:11] offset:176
	global_load_dwordx4 v[112:115], v93, s[10:11] offset:160
	s_waitcnt vmcnt(1)
	v_accvgpr_write_b32 a171, v111
	s_waitcnt vmcnt(0) lgkmcnt(14)
	v_mul_f64 v[98:99], v[86:87], v[114:115]
	v_fma_f64 v[98:99], v[84:85], v[112:113], -v[98:99]
	v_mul_f64 v[84:85], v[84:85], v[114:115]
	v_fmac_f64_e32 v[84:85], v[86:87], v[112:113]
	s_waitcnt lgkmcnt(13)
	v_mul_f64 v[86:87], v[78:79], v[110:111]
	v_fma_f64 v[86:87], v[76:77], v[108:109], -v[86:87]
	v_mul_f64 v[76:77], v[76:77], v[110:111]
	v_fmac_f64_e32 v[76:77], v[78:79], v[108:109]
	v_mul_lo_u16_sdwa v78, v88, s0 dst_sel:DWORD dst_unused:UNUSED_PAD src0_sel:BYTE_0 src1_sel:DWORD
	v_lshrrev_b16_e32 v95, 11, v78
	v_mul_lo_u16_e32 v78, 12, v95
	v_sub_u16_e32 v78, v88, v78
	v_and_b32_e32 v97, 0xff, v78
	v_accvgpr_write_b32 a175, v115
	v_lshlrev_b32_e32 v78, 5, v97
	v_accvgpr_write_b32 a174, v114
	v_accvgpr_write_b32 a173, v113
	;; [unrolled: 1-line block ×6, first 2 shown]
	global_load_dwordx4 v[108:111], v78, s[10:11] offset:176
	global_load_dwordx4 v[112:115], v78, s[10:11] offset:160
	s_waitcnt vmcnt(1)
	v_accvgpr_write_b32 a179, v111
	s_waitcnt vmcnt(0)
	v_mul_f64 v[78:79], v[74:75], v[114:115]
	v_fma_f64 v[78:79], v[72:73], v[112:113], -v[78:79]
	v_mul_f64 v[72:73], v[72:73], v[114:115]
	v_fmac_f64_e32 v[72:73], v[74:75], v[112:113]
	s_waitcnt lgkmcnt(12)
	v_mul_f64 v[74:75], v[70:71], v[110:111]
	v_fma_f64 v[74:75], v[68:69], v[108:109], -v[74:75]
	v_mul_f64 v[68:69], v[68:69], v[110:111]
	v_fmac_f64_e32 v[68:69], v[70:71], v[108:109]
	v_mul_lo_u16_sdwa v70, v152, s0 dst_sel:DWORD dst_unused:UNUSED_PAD src0_sel:BYTE_0 src1_sel:DWORD
	v_accvgpr_write_b32 a178, v110
	v_accvgpr_write_b32 a177, v109
	;; [unrolled: 1-line block ×3, first 2 shown]
	v_lshrrev_b16_e32 v108, 11, v70
	v_mul_lo_u16_e32 v70, 12, v108
	v_sub_u16_e32 v70, v152, v70
	v_and_b32_e32 v109, 0xff, v70
	v_accvgpr_write_b32 a183, v115
	v_lshlrev_b32_e32 v70, 5, v109
	v_accvgpr_write_b32 a182, v114
	v_accvgpr_write_b32 a181, v113
	v_accvgpr_write_b32 a180, v112
	global_load_dwordx4 v[110:113], v70, s[10:11] offset:176
	global_load_dwordx4 v[114:117], v70, s[10:11] offset:160
	s_waitcnt vmcnt(1)
	v_accvgpr_write_b32 a187, v113
	s_waitcnt vmcnt(0) lgkmcnt(9)
	v_mul_f64 v[70:71], v[66:67], v[116:117]
	v_fma_f64 v[70:71], v[64:65], v[114:115], -v[70:71]
	v_mul_f64 v[64:65], v[64:65], v[116:117]
	v_fmac_f64_e32 v[64:65], v[66:67], v[114:115]
	s_waitcnt lgkmcnt(7)
	v_mul_f64 v[66:67], v[62:63], v[112:113]
	v_fma_f64 v[66:67], v[60:61], v[110:111], -v[66:67]
	v_mul_f64 v[60:61], v[60:61], v[112:113]
	v_fmac_f64_e32 v[60:61], v[62:63], v[110:111]
	v_mul_lo_u16_sdwa v62, v90, s0 dst_sel:DWORD dst_unused:UNUSED_PAD src0_sel:BYTE_0 src1_sel:DWORD
	v_accvgpr_write_b32 a186, v112
	v_accvgpr_write_b32 a185, v111
	;; [unrolled: 1-line block ×3, first 2 shown]
	v_lshrrev_b16_e32 v110, 11, v62
	v_mul_lo_u16_e32 v62, 12, v110
	v_sub_u16_e32 v62, v90, v62
	v_and_b32_e32 v111, 0xff, v62
	v_accvgpr_write_b32 a191, v117
	v_lshlrev_b32_e32 v62, 5, v111
	v_accvgpr_write_b32 a190, v116
	v_accvgpr_write_b32 a189, v115
	;; [unrolled: 1-line block ×3, first 2 shown]
	global_load_dwordx4 v[112:115], v62, s[10:11] offset:176
	global_load_dwordx4 v[116:119], v62, s[10:11] offset:160
	s_mov_b32 s0, 0xaaab
	s_waitcnt vmcnt(1)
	v_accvgpr_write_b32 a195, v115
	s_waitcnt vmcnt(0)
	v_mul_f64 v[62:63], v[58:59], v[118:119]
	v_fma_f64 v[62:63], v[56:57], v[116:117], -v[62:63]
	v_mul_f64 v[56:57], v[56:57], v[118:119]
	v_fmac_f64_e32 v[56:57], v[58:59], v[116:117]
	s_waitcnt lgkmcnt(6)
	v_mul_f64 v[58:59], v[54:55], v[114:115]
	v_fma_f64 v[58:59], v[52:53], v[112:113], -v[58:59]
	v_mul_f64 v[52:53], v[52:53], v[114:115]
	v_fmac_f64_e32 v[52:53], v[54:55], v[112:113]
	v_mul_u32_u24_sdwa v54, v96, s0 dst_sel:DWORD dst_unused:UNUSED_PAD src0_sel:WORD_0 src1_sel:DWORD
	v_accvgpr_write_b32 a194, v114
	v_accvgpr_write_b32 a193, v113
	v_accvgpr_write_b32 a192, v112
	v_lshrrev_b32_e32 v112, 19, v54
	v_mul_lo_u16_e32 v54, 12, v112
	v_sub_u16_e32 v96, v96, v54
	v_lshlrev_b16_e32 v114, 5, v96
	v_mov_b32_e32 v115, 0
	v_accvgpr_write_b32 a199, v119
	v_lshl_add_u64 v[54:55], s[10:11], 0, v[114:115]
	v_accvgpr_write_b32 a198, v118
	v_accvgpr_write_b32 a197, v117
	;; [unrolled: 1-line block ×3, first 2 shown]
	global_load_dwordx4 v[116:119], v[54:55], off offset:176
	global_load_dwordx4 v[120:123], v[54:55], off offset:160
	s_waitcnt vmcnt(1)
	v_accvgpr_write_b32 a203, v119
	s_waitcnt vmcnt(0) lgkmcnt(3)
	v_mul_f64 v[54:55], v[50:51], v[122:123]
	v_fma_f64 v[54:55], v[48:49], v[120:121], -v[54:55]
	v_mul_f64 v[48:49], v[48:49], v[122:123]
	v_fmac_f64_e32 v[48:49], v[50:51], v[120:121]
	s_waitcnt lgkmcnt(1)
	v_mul_f64 v[50:51], v[46:47], v[118:119]
	v_fma_f64 v[50:51], v[44:45], v[116:117], -v[50:51]
	v_mul_f64 v[44:45], v[44:45], v[118:119]
	v_fmac_f64_e32 v[44:45], v[46:47], v[116:117]
	v_mul_u32_u24_sdwa v46, v94, s0 dst_sel:DWORD dst_unused:UNUSED_PAD src0_sel:WORD_0 src1_sel:DWORD
	v_lshrrev_b32_e32 v113, 19, v46
	v_mul_lo_u16_e32 v46, 12, v113
	v_sub_u16_e32 v94, v94, v46
	v_lshlrev_b16_e32 v114, 5, v94
	v_accvgpr_write_b32 a207, v123
	v_lshl_add_u64 v[46:47], s[10:11], 0, v[114:115]
	v_accvgpr_write_b32 a206, v122
	v_accvgpr_write_b32 a205, v121
	;; [unrolled: 1-line block ×6, first 2 shown]
	global_load_dwordx4 v[116:119], v[46:47], off offset:176
	global_load_dwordx4 v[120:123], v[46:47], off offset:160
	s_waitcnt vmcnt(1)
	v_accvgpr_write_b32 a211, v119
	s_waitcnt vmcnt(0)
	v_mul_f64 v[46:47], v[42:43], v[122:123]
	v_fma_f64 v[46:47], v[40:41], v[120:121], -v[46:47]
	v_mul_f64 v[40:41], v[40:41], v[122:123]
	v_fmac_f64_e32 v[40:41], v[42:43], v[120:121]
	s_waitcnt lgkmcnt(0)
	v_mul_f64 v[42:43], v[38:39], v[118:119]
	v_fma_f64 v[42:43], v[36:37], v[116:117], -v[42:43]
	v_mul_f64 v[36:37], v[36:37], v[118:119]
	v_fmac_f64_e32 v[36:37], v[38:39], v[116:117]
	v_mul_u32_u24_sdwa v38, v92, s0 dst_sel:DWORD dst_unused:UNUSED_PAD src0_sel:WORD_0 src1_sel:DWORD
	v_lshrrev_b32_e32 v126, 19, v38
	v_mul_lo_u16_e32 v38, 12, v126
	v_sub_u16_e32 v127, v92, v38
	v_lshlrev_b16_e32 v114, 5, v127
	v_accvgpr_write_b32 a215, v123
	v_lshl_add_u64 v[38:39], s[10:11], 0, v[114:115]
	v_accvgpr_write_b32 a214, v122
	v_accvgpr_write_b32 a213, v121
	v_accvgpr_write_b32 a212, v120
	v_accvgpr_write_b32 a210, v118
	v_accvgpr_write_b32 a209, v117
	v_accvgpr_write_b32 a208, v116
	global_load_dwordx4 v[114:117], v[38:39], off offset:176
	global_load_dwordx4 v[118:121], v[38:39], off offset:160
	s_mov_b32 s0, 0xe8584caa
	s_mov_b32 s1, 0x3febb67a
	;; [unrolled: 1-line block ×3, first 2 shown]
	s_waitcnt lgkmcnt(0)
	; wave barrier
	s_waitcnt vmcnt(1)
	v_accvgpr_write_b32 a239, v117
	s_waitcnt vmcnt(0)
	v_mul_f64 v[38:39], v[34:35], v[120:121]
	v_fma_f64 v[38:39], v[32:33], v[118:119], -v[38:39]
	v_mul_f64 v[92:93], v[32:33], v[120:121]
	v_mul_f64 v[32:33], v[2:3], v[116:117]
	v_fma_f64 v[32:33], v[0:1], v[114:115], -v[32:33]
	v_mul_f64 v[0:1], v[0:1], v[116:117]
	v_fmac_f64_e32 v[0:1], v[2:3], v[114:115]
	v_add_f64 v[2:3], v[28:29], v[98:99]
	v_accvgpr_write_b32 a238, v116
	v_accvgpr_write_b32 a237, v115
	;; [unrolled: 1-line block ×3, first 2 shown]
	v_add_f64 v[114:115], v[2:3], v[86:87]
	v_add_f64 v[2:3], v[98:99], v[86:87]
	v_accvgpr_write_b32 a247, v121
	v_fmac_f64_e32 v[28:29], -0.5, v[2:3]
	v_add_f64 v[2:3], v[84:85], -v[76:77]
	v_accvgpr_write_b32 a246, v120
	v_accvgpr_write_b32 a245, v119
	;; [unrolled: 1-line block ×3, first 2 shown]
	v_fmac_f64_e32 v[92:93], v[34:35], v[118:119]
	v_fma_f64 v[118:119], s[0:1], v[2:3], v[28:29]
	v_fmac_f64_e32 v[28:29], s[2:3], v[2:3]
	v_add_f64 v[2:3], v[30:31], v[84:85]
	v_add_f64 v[116:117], v[2:3], v[76:77]
	v_add_f64 v[2:3], v[84:85], v[76:77]
	v_fmac_f64_e32 v[30:31], -0.5, v[2:3]
	v_add_f64 v[2:3], v[98:99], -v[86:87]
	v_fma_f64 v[120:121], s[2:3], v[2:3], v[30:31]
	v_fmac_f64_e32 v[30:31], s[0:1], v[2:3]
	v_add_f64 v[2:3], v[24:25], v[78:79]
	v_add_f64 v[84:85], v[2:3], v[74:75]
	v_add_f64 v[2:3], v[78:79], v[74:75]
	v_fmac_f64_e32 v[24:25], -0.5, v[2:3]
	v_add_f64 v[2:3], v[72:73], -v[68:69]
	;; [unrolled: 7-line block ×11, first 2 shown]
	v_mul_lo_u16_e32 v42, 36, v89
	v_and_b32_e32 v42, 0xfc, v42
	v_add_lshl_u32 v42, v42, v91, 4
	ds_write_b128 v42, v[114:117]
	ds_write_b128 v42, v[118:121] offset:192
	ds_write_b128 v42, v[28:31] offset:384
	v_mul_u32_u24_e32 v28, 36, v95
	v_add_lshl_u32 v28, v28, v97, 4
	ds_write_b128 v28, v[84:87]
	ds_write_b128 v28, v[122:125] offset:192
	ds_write_b128 v28, v[24:27] offset:384
	v_mul_u32_u24_e32 v24, 36, v108
	;; [unrolled: 5-line block ×3, first 2 shown]
	v_add_lshl_u32 v20, v20, v111, 4
	ds_write_b128 v20, v[64:67]
	ds_write_b128 v20, v[60:63] offset:192
	ds_write_b128 v20, v[16:19] offset:384
	v_mad_legacy_u16 v16, v112, 36, v96
	v_lshlrev_b32_e32 v16, 4, v16
	ds_write_b128 v16, v[56:59]
	ds_write_b128 v16, v[52:55] offset:192
	ds_write_b128 v16, v[12:15] offset:384
	v_mad_legacy_u16 v12, v113, 36, v94
	v_fma_f64 v[46:47], s[2:3], v[2:3], v[10:11]
	v_fmac_f64_e32 v[10:11], s[0:1], v[2:3]
	v_add_f64 v[2:3], v[38:39], v[32:33]
	v_add_f64 v[36:37], v[92:93], v[0:1]
	v_lshlrev_b32_e32 v12, 4, v12
	v_fma_f64 v[2:3], -0.5, v[2:3], v[4:5]
	v_add_f64 v[34:35], v[92:93], -v[0:1]
	v_fma_f64 v[36:37], -0.5, v[36:37], v[6:7]
	v_add_f64 v[40:41], v[38:39], -v[32:33]
	ds_write_b128 v12, v[48:51]
	ds_write_b128 v12, v[44:47] offset:192
	ds_write_b128 v12, v[8:11] offset:384
	v_mad_legacy_u16 v8, v126, 36, v127
	v_fma_f64 v[76:77], s[2:3], v[34:35], v[2:3]
	v_fma_f64 v[78:79], s[0:1], v[40:41], v[36:37]
	v_accvgpr_write_b32 a167, v42
	v_accvgpr_write_b32 a216, v28
	;; [unrolled: 1-line block ×7, first 2 shown]
	s_and_saveexec_b64 s[2:3], vcc
	s_cbranch_execz .LBB0_9
; %bb.8:
	v_add_f64 v[6:7], v[6:7], v[92:93]
	v_mul_f64 v[10:11], v[34:35], s[0:1]
	v_add_f64 v[12:13], v[6:7], v[0:1]
	v_add_f64 v[0:1], v[4:5], v[38:39]
	;; [unrolled: 1-line block ×4, first 2 shown]
	v_accvgpr_read_b32 v0, a217
	v_mul_f64 v[8:9], v[40:41], s[0:1]
	v_lshlrev_b32_e32 v0, 4, v0
	v_add_f64 v[8:9], v[36:37], -v[8:9]
	ds_write_b128 v0, v[10:13]
	ds_write_b128 v0, v[6:9] offset:192
	ds_write_b128 v0, v[76:79] offset:384
.LBB0_9:
	s_or_b64 exec, exec, s[2:3]
	s_movk_i32 s0, 0xffdc
	s_mov_b32 s1, -1
	v_lshl_add_u64 v[0:1], v[150:151], 0, s[0:1]
	v_cmp_gt_u16_e64 s[0:1], 36, v150
	v_mov_b32_e32 v8, 57
	s_waitcnt lgkmcnt(0)
	v_cndmask_b32_e64 v93, v1, 0, s[0:1]
	v_cndmask_b32_e64 v92, v0, v150, s[0:1]
	v_lshlrev_b64 v[0:1], 6, v[92:93]
	v_lshl_add_u64 v[0:1], s[10:11], 0, v[0:1]
	; wave barrier
	global_load_dwordx4 v[220:223], v[0:1], off offset:544
	global_load_dwordx4 v[212:215], v[0:1], off offset:560
	;; [unrolled: 1-line block ×4, first 2 shown]
	v_mul_lo_u16_sdwa v0, v88, v8 dst_sel:DWORD dst_unused:UNUSED_PAD src0_sel:BYTE_0 src1_sel:DWORD
	v_lshrrev_b16_e32 v93, 11, v0
	v_mul_lo_u16_e32 v0, 36, v93
	v_sub_u16_e32 v0, v88, v0
	v_and_b32_e32 v130, 0xff, v0
	v_mul_lo_u16_sdwa v1, v152, v8 dst_sel:DWORD dst_unused:UNUSED_PAD src0_sel:BYTE_0 src1_sel:DWORD
	v_lshlrev_b32_e32 v0, 6, v130
	v_lshrrev_b16_e32 v131, 11, v1
	global_load_dwordx4 v[236:239], v0, s[10:11] offset:544
	global_load_dwordx4 v[232:235], v0, s[10:11] offset:560
	;; [unrolled: 1-line block ×3, first 2 shown]
	v_mul_lo_u16_e32 v1, 36, v131
	global_load_dwordx4 v[248:251], v0, s[10:11] offset:592
	v_sub_u16_e32 v0, v152, v1
	v_and_b32_e32 v132, 0xff, v0
	v_lshlrev_b32_e32 v9, 6, v132
	v_mul_lo_u16_sdwa v8, v90, v8 dst_sel:DWORD dst_unused:UNUSED_PAD src0_sel:BYTE_0 src1_sel:DWORD
	global_load_dwordx4 v[4:7], v9, s[10:11] offset:544
	global_load_dwordx4 v[0:3], v9, s[10:11] offset:560
	;; [unrolled: 1-line block ×3, first 2 shown]
	v_lshrrev_b16_e32 v133, 11, v8
	v_mul_lo_u16_e32 v12, 36, v133
	global_load_dwordx4 v[8:11], v9, s[10:11] offset:592
	v_sub_u16_e32 v12, v90, v12
	v_and_b32_e32 v134, 0xff, v12
	v_lshlrev_b32_e32 v12, 6, v134
	global_load_dwordx4 v[24:27], v12, s[10:11] offset:544
	global_load_dwordx4 v[20:23], v12, s[10:11] offset:560
	;; [unrolled: 1-line block ×3, first 2 shown]
	s_nop 0
	global_load_dwordx4 v[12:15], v12, s[10:11] offset:592
	ds_read_b128 v[36:39], v148
	ds_read_b128 v[32:35], v148 offset:1008
	ds_read_b128 v[40:43], v148 offset:4032
	;; [unrolled: 1-line block ×19, first 2 shown]
	s_mov_b32 s2, 0x134454ff
	s_mov_b32 s3, 0x3fee6f0e
	;; [unrolled: 1-line block ×10, first 2 shown]
	s_waitcnt lgkmcnt(0)
	; wave barrier
	s_waitcnt vmcnt(15) lgkmcnt(0)
	v_mul_f64 v[72:73], v[42:43], v[222:223]
	v_mul_f64 v[154:155], v[40:41], v[222:223]
	v_fma_f64 v[162:163], v[40:41], v[220:221], -v[72:73]
	s_waitcnt vmcnt(12)
	v_mul_f64 v[160:161], v[64:65], v[124:125]
	v_mul_f64 v[90:91], v[66:67], v[124:125]
	v_fmac_f64_e32 v[160:161], v[66:67], v[122:123]
	v_mul_f64 v[156:157], v[48:49], v[214:215]
	v_mul_f64 v[74:75], v[50:51], v[214:215]
	v_fmac_f64_e32 v[156:157], v[50:51], v[212:213]
	v_fma_f64 v[50:51], v[64:65], v[122:123], -v[90:91]
	s_waitcnt vmcnt(11)
	v_mul_f64 v[40:41], v[46:47], v[238:239]
	v_fma_f64 v[66:67], v[44:45], v[236:237], -v[40:41]
	s_waitcnt vmcnt(9)
	v_mul_f64 v[40:41], v[62:63], v[230:231]
	;; [unrolled: 3-line block ×3, first 2 shown]
	v_fma_f64 v[170:171], v[68:69], v[248:249], -v[40:41]
	v_accvgpr_write_b32 a255, v125
	s_waitcnt vmcnt(7)
	v_mul_f64 v[40:41], v[86:87], v[6:7]
	v_fma_f64 v[90:91], v[84:85], v[4:5], -v[40:41]
	s_waitcnt vmcnt(6)
	v_mul_f64 v[40:41], v[110:111], v[2:3]
	v_accvgpr_write_b32 a254, v124
	v_accvgpr_write_b32 a253, v123
	v_accvgpr_write_b32 a252, v122
	v_fma_f64 v[122:123], v[108:109], v[0:1], -v[40:41]
	s_waitcnt vmcnt(5)
	v_mul_f64 v[40:41], v[120:121], v[254:255]
	v_fma_f64 v[124:125], v[118:119], v[252:253], -v[40:41]
	s_waitcnt vmcnt(4)
	v_mul_f64 v[40:41], v[142:143], v[10:11]
	v_mul_f64 v[84:85], v[84:85], v[6:7]
	v_fma_f64 v[126:127], v[140:141], v[8:9], -v[40:41]
	s_waitcnt vmcnt(3)
	v_mul_f64 v[40:41], v[96:97], v[26:27]
	v_fmac_f64_e32 v[84:85], v[86:87], v[4:5]
	v_mul_f64 v[116:117], v[108:109], v[2:3]
	v_fma_f64 v[86:87], v[94:95], v[24:25], -v[40:41]
	s_waitcnt vmcnt(2)
	v_mul_f64 v[40:41], v[114:115], v[22:23]
	v_fmac_f64_e32 v[116:117], v[110:111], v[0:1]
	;; [unrolled: 5-line block ×3, first 2 shown]
	v_mul_f64 v[96:97], v[112:113], v[22:23]
	v_fma_f64 v[112:113], v[136:137], v[16:17], -v[40:41]
	s_waitcnt vmcnt(0)
	v_mul_f64 v[40:41], v[146:147], v[14:15]
	v_mul_f64 v[88:89], v[58:59], v[202:203]
	v_fma_f64 v[164:165], v[48:49], v[212:213], -v[74:75]
	v_fmac_f64_e32 v[96:97], v[114:115], v[20:21]
	v_fma_f64 v[114:115], v[144:145], v[12:13], -v[40:41]
	v_add_f64 v[40:41], v[36:37], v[162:163]
	v_mul_f64 v[158:159], v[56:57], v[202:203]
	v_fma_f64 v[56:57], v[56:57], v[200:201], -v[88:89]
	v_add_f64 v[40:41], v[40:41], v[164:165]
	v_add_f64 v[40:41], v[40:41], v[56:57]
	v_fmac_f64_e32 v[154:155], v[42:43], v[220:221]
	v_mul_f64 v[72:73], v[44:45], v[238:239]
	v_mul_f64 v[42:43], v[54:55], v[234:235]
	v_add_f64 v[44:45], v[40:41], v[50:51]
	v_add_f64 v[40:41], v[164:165], v[56:57]
	v_fmac_f64_e32 v[158:159], v[58:59], v[200:201]
	v_mul_f64 v[74:75], v[52:53], v[234:235]
	v_fma_f64 v[166:167], v[52:53], v[232:233], -v[42:43]
	v_fma_f64 v[40:41], -0.5, v[40:41], v[36:37]
	v_add_f64 v[42:43], v[154:155], -v[160:161]
	v_fmac_f64_e32 v[72:73], v[46:47], v[236:237]
	v_fmac_f64_e32 v[74:75], v[54:55], v[232:233]
	v_fma_f64 v[48:49], s[2:3], v[42:43], v[40:41]
	v_add_f64 v[46:47], v[156:157], -v[158:159]
	v_add_f64 v[52:53], v[162:163], -v[164:165]
	;; [unrolled: 1-line block ×3, first 2 shown]
	v_fmac_f64_e32 v[40:41], s[16:17], v[42:43]
	v_fmac_f64_e32 v[48:49], s[0:1], v[46:47]
	v_add_f64 v[52:53], v[52:53], v[54:55]
	v_fmac_f64_e32 v[40:41], s[18:19], v[46:47]
	v_fmac_f64_e32 v[48:49], s[14:15], v[52:53]
	;; [unrolled: 1-line block ×3, first 2 shown]
	v_add_f64 v[52:53], v[162:163], v[50:51]
	v_fmac_f64_e32 v[36:37], -0.5, v[52:53]
	v_fma_f64 v[52:53], s[16:17], v[46:47], v[36:37]
	v_fmac_f64_e32 v[36:37], s[2:3], v[46:47]
	v_fmac_f64_e32 v[52:53], s[0:1], v[42:43]
	;; [unrolled: 1-line block ×3, first 2 shown]
	v_add_f64 v[42:43], v[38:39], v[154:155]
	v_add_f64 v[42:43], v[42:43], v[156:157]
	v_add_f64 v[42:43], v[42:43], v[158:159]
	v_add_f64 v[54:55], v[164:165], -v[162:163]
	v_add_f64 v[58:59], v[56:57], -v[50:51]
	v_add_f64 v[46:47], v[42:43], v[160:161]
	v_add_f64 v[42:43], v[156:157], v[158:159]
	;; [unrolled: 1-line block ×3, first 2 shown]
	v_fma_f64 v[42:43], -0.5, v[42:43], v[38:39]
	v_add_f64 v[58:59], v[162:163], -v[50:51]
	v_mul_f64 v[88:89], v[60:61], v[230:231]
	v_fmac_f64_e32 v[52:53], s[14:15], v[54:55]
	v_fmac_f64_e32 v[36:37], s[14:15], v[54:55]
	v_fma_f64 v[50:51], s[16:17], v[58:59], v[42:43]
	v_add_f64 v[56:57], v[164:165], -v[56:57]
	v_add_f64 v[54:55], v[154:155], -v[156:157]
	;; [unrolled: 1-line block ×3, first 2 shown]
	v_fmac_f64_e32 v[42:43], s[2:3], v[58:59]
	v_fmac_f64_e32 v[50:51], s[18:19], v[56:57]
	v_add_f64 v[54:55], v[54:55], v[60:61]
	v_fmac_f64_e32 v[42:43], s[0:1], v[56:57]
	v_fmac_f64_e32 v[50:51], s[14:15], v[54:55]
	;; [unrolled: 1-line block ×3, first 2 shown]
	v_add_f64 v[54:55], v[154:155], v[160:161]
	v_fmac_f64_e32 v[38:39], -0.5, v[54:55]
	v_fma_f64 v[54:55], s[2:3], v[56:57], v[38:39]
	v_fmac_f64_e32 v[38:39], s[16:17], v[56:57]
	v_add_f64 v[56:57], v[32:33], v[66:67]
	v_fmac_f64_e32 v[88:89], v[62:63], v[228:229]
	v_add_f64 v[60:61], v[156:157], -v[154:155]
	v_add_f64 v[62:63], v[158:159], -v[160:161]
	v_add_f64 v[56:57], v[56:57], v[166:167]
	v_mul_f64 v[128:129], v[68:69], v[250:251]
	v_fmac_f64_e32 v[54:55], s[18:19], v[58:59]
	v_add_f64 v[60:61], v[60:61], v[62:63]
	v_fmac_f64_e32 v[38:39], s[0:1], v[58:59]
	v_add_f64 v[56:57], v[56:57], v[168:169]
	v_fmac_f64_e32 v[128:129], v[70:71], v[248:249]
	v_fmac_f64_e32 v[54:55], s[14:15], v[60:61]
	;; [unrolled: 1-line block ×3, first 2 shown]
	v_add_f64 v[60:61], v[56:57], v[170:171]
	v_add_f64 v[56:57], v[166:167], v[168:169]
	v_fma_f64 v[56:57], -0.5, v[56:57], v[32:33]
	v_add_f64 v[58:59], v[72:73], -v[128:129]
	v_fma_f64 v[64:65], s[2:3], v[58:59], v[56:57]
	v_add_f64 v[62:63], v[74:75], -v[88:89]
	v_add_f64 v[68:69], v[66:67], -v[166:167]
	;; [unrolled: 1-line block ×3, first 2 shown]
	v_fmac_f64_e32 v[56:57], s[16:17], v[58:59]
	v_fmac_f64_e32 v[64:65], s[0:1], v[62:63]
	v_add_f64 v[68:69], v[68:69], v[70:71]
	v_fmac_f64_e32 v[56:57], s[18:19], v[62:63]
	v_fmac_f64_e32 v[64:65], s[14:15], v[68:69]
	;; [unrolled: 1-line block ×3, first 2 shown]
	v_add_f64 v[68:69], v[66:67], v[170:171]
	v_fmac_f64_e32 v[32:33], -0.5, v[68:69]
	v_fma_f64 v[68:69], s[16:17], v[62:63], v[32:33]
	v_fmac_f64_e32 v[32:33], s[2:3], v[62:63]
	v_fmac_f64_e32 v[68:69], s[0:1], v[58:59]
	;; [unrolled: 1-line block ×3, first 2 shown]
	v_add_f64 v[58:59], v[34:35], v[72:73]
	v_add_f64 v[58:59], v[58:59], v[74:75]
	;; [unrolled: 1-line block ×3, first 2 shown]
	v_mul_f64 v[98:99], v[136:137], v[18:19]
	v_add_f64 v[70:71], v[166:167], -v[66:67]
	v_add_f64 v[136:137], v[168:169], -v[170:171]
	v_add_f64 v[62:63], v[58:59], v[128:129]
	v_add_f64 v[58:59], v[74:75], v[88:89]
	v_mul_f64 v[118:119], v[118:119], v[254:255]
	v_add_f64 v[70:71], v[70:71], v[136:137]
	v_fma_f64 v[58:59], -0.5, v[58:59], v[34:35]
	v_add_f64 v[136:137], v[66:67], -v[170:171]
	v_fmac_f64_e32 v[118:119], v[120:121], v[252:253]
	v_mul_f64 v[120:121], v[140:141], v[10:11]
	v_fmac_f64_e32 v[98:99], v[138:139], v[16:17]
	v_fmac_f64_e32 v[68:69], s[14:15], v[70:71]
	;; [unrolled: 1-line block ×3, first 2 shown]
	v_fma_f64 v[66:67], s[16:17], v[136:137], v[58:59]
	v_add_f64 v[138:139], v[166:167], -v[168:169]
	v_add_f64 v[70:71], v[72:73], -v[74:75]
	;; [unrolled: 1-line block ×3, first 2 shown]
	v_fmac_f64_e32 v[58:59], s[2:3], v[136:137]
	v_fmac_f64_e32 v[66:67], s[18:19], v[138:139]
	v_add_f64 v[70:71], v[70:71], v[140:141]
	v_fmac_f64_e32 v[58:59], s[0:1], v[138:139]
	v_fmac_f64_e32 v[66:67], s[14:15], v[70:71]
	;; [unrolled: 1-line block ×3, first 2 shown]
	v_add_f64 v[70:71], v[72:73], v[128:129]
	v_add_f64 v[72:73], v[74:75], -v[72:73]
	v_add_f64 v[74:75], v[88:89], -v[128:129]
	v_fmac_f64_e32 v[120:121], v[142:143], v[8:9]
	v_fmac_f64_e32 v[34:35], -0.5, v[70:71]
	v_add_f64 v[72:73], v[72:73], v[74:75]
	v_add_f64 v[74:75], v[122:123], v[124:125]
	v_fma_f64 v[70:71], s[2:3], v[138:139], v[34:35]
	v_fmac_f64_e32 v[34:35], s[16:17], v[138:139]
	v_fma_f64 v[204:205], -0.5, v[74:75], v[28:29]
	v_add_f64 v[74:75], v[84:85], -v[120:121]
	v_fmac_f64_e32 v[70:71], s[18:19], v[136:137]
	v_fmac_f64_e32 v[34:35], s[0:1], v[136:137]
	v_fma_f64 v[88:89], s[2:3], v[74:75], v[204:205]
	v_add_f64 v[128:129], v[116:117], -v[118:119]
	v_add_f64 v[136:137], v[90:91], -v[122:123]
	;; [unrolled: 1-line block ×3, first 2 shown]
	v_fmac_f64_e32 v[204:205], s[16:17], v[74:75]
	v_fmac_f64_e32 v[88:89], s[0:1], v[128:129]
	v_add_f64 v[136:137], v[136:137], v[138:139]
	v_fmac_f64_e32 v[204:205], s[18:19], v[128:129]
	v_fmac_f64_e32 v[70:71], s[14:15], v[72:73]
	;; [unrolled: 1-line block ×3, first 2 shown]
	v_add_f64 v[72:73], v[28:29], v[90:91]
	v_fmac_f64_e32 v[88:89], s[14:15], v[136:137]
	v_fmac_f64_e32 v[204:205], s[14:15], v[136:137]
	v_add_f64 v[136:137], v[90:91], v[126:127]
	v_add_f64 v[72:73], v[72:73], v[122:123]
	v_fmac_f64_e32 v[28:29], -0.5, v[136:137]
	v_add_f64 v[72:73], v[72:73], v[124:125]
	v_fma_f64 v[136:137], s[16:17], v[128:129], v[28:29]
	v_fmac_f64_e32 v[28:29], s[2:3], v[128:129]
	v_add_f64 v[128:129], v[116:117], v[118:119]
	v_add_f64 v[72:73], v[72:73], v[126:127]
	v_add_f64 v[140:141], v[124:125], -v[126:127]
	v_fma_f64 v[206:207], -0.5, v[128:129], v[30:31]
	v_add_f64 v[126:127], v[90:91], -v[126:127]
	v_add_f64 v[138:139], v[122:123], -v[90:91]
	v_fma_f64 v[90:91], s[16:17], v[126:127], v[206:207]
	v_add_f64 v[122:123], v[122:123], -v[124:125]
	v_add_f64 v[124:125], v[84:85], -v[116:117]
	;; [unrolled: 1-line block ×3, first 2 shown]
	v_fmac_f64_e32 v[206:207], s[2:3], v[126:127]
	v_fmac_f64_e32 v[90:91], s[18:19], v[122:123]
	v_add_f64 v[124:125], v[124:125], v[128:129]
	v_fmac_f64_e32 v[206:207], s[0:1], v[122:123]
	v_fmac_f64_e32 v[90:91], s[14:15], v[124:125]
	;; [unrolled: 1-line block ×3, first 2 shown]
	v_add_f64 v[124:125], v[84:85], v[120:121]
	v_fmac_f64_e32 v[136:137], s[0:1], v[74:75]
	v_add_f64 v[138:139], v[138:139], v[140:141]
	v_fmac_f64_e32 v[28:29], s[18:19], v[74:75]
	v_add_f64 v[74:75], v[30:31], v[84:85]
	v_fmac_f64_e32 v[30:31], -0.5, v[124:125]
	v_fmac_f64_e32 v[136:137], s[14:15], v[138:139]
	v_fmac_f64_e32 v[28:29], s[14:15], v[138:139]
	v_add_f64 v[74:75], v[74:75], v[116:117]
	v_fma_f64 v[138:139], s[2:3], v[122:123], v[30:31]
	v_add_f64 v[84:85], v[116:117], -v[84:85]
	v_add_f64 v[116:117], v[118:119], -v[120:121]
	v_fmac_f64_e32 v[30:31], s[16:17], v[122:123]
	v_fmac_f64_e32 v[138:139], s[18:19], v[126:127]
	v_add_f64 v[84:85], v[84:85], v[116:117]
	v_fmac_f64_e32 v[30:31], s[0:1], v[126:127]
	v_fmac_f64_e32 v[138:139], s[14:15], v[84:85]
	;; [unrolled: 1-line block ×3, first 2 shown]
	v_add_f64 v[84:85], v[208:209], v[86:87]
	v_add_f64 v[84:85], v[84:85], v[110:111]
	v_mul_f64 v[108:109], v[144:145], v[14:15]
	v_add_f64 v[84:85], v[84:85], v[112:113]
	v_fmac_f64_e32 v[108:109], v[146:147], v[12:13]
	v_add_f64 v[224:225], v[84:85], v[114:115]
	v_add_f64 v[84:85], v[110:111], v[112:113]
	;; [unrolled: 1-line block ×3, first 2 shown]
	v_fma_f64 v[244:245], -0.5, v[84:85], v[208:209]
	v_add_f64 v[116:117], v[94:95], -v[108:109]
	v_add_f64 v[74:75], v[74:75], v[120:121]
	v_fma_f64 v[240:241], s[2:3], v[116:117], v[244:245]
	v_add_f64 v[118:119], v[96:97], -v[98:99]
	v_add_f64 v[84:85], v[86:87], -v[110:111]
	;; [unrolled: 1-line block ×3, first 2 shown]
	v_fmac_f64_e32 v[244:245], s[16:17], v[116:117]
	v_fmac_f64_e32 v[240:241], s[0:1], v[118:119]
	v_add_f64 v[84:85], v[84:85], v[120:121]
	v_fmac_f64_e32 v[244:245], s[18:19], v[118:119]
	v_fmac_f64_e32 v[240:241], s[14:15], v[84:85]
	;; [unrolled: 1-line block ×3, first 2 shown]
	v_add_f64 v[84:85], v[86:87], v[114:115]
	v_fmac_f64_e32 v[208:209], -0.5, v[84:85]
	v_fma_f64 v[84:85], s[16:17], v[118:119], v[208:209]
	v_fmac_f64_e32 v[208:209], s[2:3], v[118:119]
	v_fmac_f64_e32 v[84:85], s[0:1], v[116:117]
	;; [unrolled: 1-line block ×3, first 2 shown]
	v_add_f64 v[116:117], v[210:211], v[94:95]
	v_add_f64 v[116:117], v[116:117], v[96:97]
	;; [unrolled: 1-line block ×5, first 2 shown]
	v_add_f64 v[122:123], v[112:113], -v[114:115]
	v_fma_f64 v[246:247], -0.5, v[116:117], v[210:211]
	v_add_f64 v[114:115], v[86:87], -v[114:115]
	v_add_f64 v[120:121], v[110:111], -v[86:87]
	v_fma_f64 v[242:243], s[16:17], v[114:115], v[246:247]
	v_add_f64 v[110:111], v[110:111], -v[112:113]
	v_add_f64 v[86:87], v[94:95], -v[96:97]
	v_add_f64 v[112:113], v[108:109], -v[98:99]
	v_fmac_f64_e32 v[246:247], s[2:3], v[114:115]
	v_fmac_f64_e32 v[242:243], s[18:19], v[110:111]
	v_add_f64 v[86:87], v[86:87], v[112:113]
	v_fmac_f64_e32 v[246:247], s[0:1], v[110:111]
	v_fmac_f64_e32 v[242:243], s[14:15], v[86:87]
	;; [unrolled: 1-line block ×3, first 2 shown]
	v_add_f64 v[86:87], v[94:95], v[108:109]
	v_fmac_f64_e32 v[210:211], -0.5, v[86:87]
	v_fma_f64 v[86:87], s[2:3], v[110:111], v[210:211]
	v_add_f64 v[94:95], v[96:97], -v[94:95]
	v_add_f64 v[96:97], v[98:99], -v[108:109]
	v_fmac_f64_e32 v[210:211], s[16:17], v[110:111]
	v_fmac_f64_e32 v[86:87], s[18:19], v[114:115]
	v_add_f64 v[94:95], v[94:95], v[96:97]
	v_fmac_f64_e32 v[210:211], s[0:1], v[114:115]
	v_fmac_f64_e32 v[86:87], s[14:15], v[94:95]
	;; [unrolled: 1-line block ×3, first 2 shown]
	v_mov_b32_e32 v94, 0xb4
	v_cmp_lt_u16_e64 s[0:1], 35, v150
	v_add_f64 v[120:121], v[120:121], v[122:123]
	v_fmac_f64_e32 v[84:85], s[14:15], v[120:121]
	v_cndmask_b32_e64 v94, 0, v94, s[0:1]
	v_add_lshl_u32 v92, v92, v94, 4
	ds_write_b128 v92, v[44:47]
	ds_write_b128 v92, v[48:51] offset:576
	ds_write_b128 v92, v[52:55] offset:1152
	;; [unrolled: 1-line block ×3, first 2 shown]
	v_mul_u32_u24_e32 v36, 0xb4, v93
	v_add_lshl_u32 v151, v36, v130, 4
	ds_write_b128 v92, v[40:43] offset:2304
	ds_write_b128 v151, v[60:63]
	ds_write_b128 v151, v[64:67] offset:576
	ds_write_b128 v151, v[68:71] offset:1152
	;; [unrolled: 1-line block ×4, first 2 shown]
	v_mul_u32_u24_e32 v32, 0xb4, v131
	v_add_lshl_u32 v32, v32, v132, 4
	ds_write_b128 v32, v[72:75]
	ds_write_b128 v32, v[88:91] offset:576
	ds_write_b128 v32, v[136:139] offset:1152
	;; [unrolled: 1-line block ×3, first 2 shown]
	v_mul_u32_u24_e32 v28, 0xb4, v133
	v_add_lshl_u32 v149, v28, v134, 4
	v_fmac_f64_e32 v[208:209], s[14:15], v[120:121]
	v_accvgpr_write_b32 a21, v92
	ds_write_b128 v32, v[204:207] offset:2304
	ds_write_b128 v149, v[224:227]
	ds_write_b128 v149, v[240:243] offset:576
	ds_write_b128 v149, v[84:87] offset:1152
	;; [unrolled: 1-line block ×4, first 2 shown]
	s_waitcnt lgkmcnt(0)
	; wave barrier
	s_waitcnt lgkmcnt(0)
	ds_read_b128 v[88:91], v148
	ds_read_b128 v[216:219], v148 offset:1008
	ds_read_b128 v[124:127], v148 offset:2880
	;; [unrolled: 1-line block ×13, first 2 shown]
	v_accvgpr_write_b32 a231, v32
	v_cmp_gt_u16_e64 s[0:1], 54, v150
	s_and_saveexec_b64 s[2:3], s[0:1]
	s_cbranch_execz .LBB0_11
; %bb.10:
	ds_read_b128 v[204:207], v148 offset:2016
	ds_read_b128 v[224:227], v148 offset:4896
	;; [unrolled: 1-line block ×7, first 2 shown]
.LBB0_11:
	s_or_b64 exec, exec, s[2:3]
	s_movk_i32 s2, 0x60
	v_mov_b64_e32 v[28:29], s[10:11]
	v_mad_u64_u32 v[52:53], s[2:3], v150, s2, v[28:29]
	v_subrev_u32_e32 v153, 54, v150
	global_load_dwordx4 v[40:43], v[52:53], off offset:2848
	global_load_dwordx4 v[36:39], v[52:53], off offset:2864
	;; [unrolled: 1-line block ×6, first 2 shown]
	v_cndmask_b32_e64 v152, v153, v152, s[0:1]
	s_mov_b64 s[2:3], 0x17a0
	v_mul_hi_i32_i24_e32 v153, 0x60, v152
	v_mul_i32_i24_e32 v152, 0x60, v152
	v_lshl_add_u64 v[68:69], v[52:53], 0, s[2:3]
	v_lshl_add_u64 v[152:153], s[10:11], 0, v[152:153]
	global_load_dwordx4 v[64:67], v[68:69], off offset:2848
	global_load_dwordx4 v[60:63], v[68:69], off offset:2864
	;; [unrolled: 1-line block ×5, first 2 shown]
	s_nop 0
	global_load_dwordx4 v[68:71], v[68:69], off offset:2928
	s_nop 0
	global_load_dwordx4 v[192:195], v[152:153], off offset:2848
	global_load_dwordx4 v[188:191], v[152:153], off offset:2864
	;; [unrolled: 1-line block ×6, first 2 shown]
	s_mov_b32 s22, 0x37e14327
	s_mov_b32 s14, 0x36b3c0b5
	;; [unrolled: 1-line block ×20, first 2 shown]
	s_waitcnt vmcnt(17) lgkmcnt(11)
	v_mul_f64 v[154:155], v[124:125], v[42:43]
	s_waitcnt vmcnt(16) lgkmcnt(9)
	v_mul_f64 v[156:157], v[130:131], v[38:39]
	;; [unrolled: 2-line block ×5, first 2 shown]
	v_mul_f64 v[152:153], v[126:127], v[42:43]
	v_mul_f64 v[158:159], v[128:129], v[38:39]
	v_mul_f64 v[162:163], v[132:133], v[34:35]
	v_mul_f64 v[164:165], v[138:139], v[30:31]
	v_mul_f64 v[170:171], v[140:141], v[50:51]
	s_waitcnt vmcnt(12) lgkmcnt(1)
	v_mul_f64 v[174:175], v[144:145], v[46:47]
	v_fmac_f64_e32 v[154:155], v[126:127], v[40:41]
	v_fma_f64 v[126:127], v[128:129], v[36:37], -v[156:157]
	v_fma_f64 v[128:129], v[132:133], v[32:33], -v[160:161]
	v_fmac_f64_e32 v[166:167], v[138:139], v[28:29]
	v_fma_f64 v[132:133], v[140:141], v[48:49], -v[168:169]
	s_waitcnt vmcnt(11)
	v_mul_f64 v[138:139], v[92:93], v[66:67]
	s_waitcnt vmcnt(10)
	v_mul_f64 v[140:141], v[98:99], v[62:63]
	v_mul_f64 v[172:173], v[146:147], v[46:47]
	v_fmac_f64_e32 v[158:159], v[130:131], v[36:37]
	v_fma_f64 v[130:131], v[136:137], v[28:29], -v[164:165]
	v_fmac_f64_e32 v[170:171], v[142:143], v[48:49]
	v_fmac_f64_e32 v[174:175], v[146:147], v[44:45]
	v_mul_f64 v[136:137], v[94:95], v[66:67]
	v_mul_f64 v[142:143], v[96:97], v[62:63]
	s_waitcnt vmcnt(9)
	v_mul_f64 v[146:147], v[108:109], v[58:59]
	v_fmac_f64_e32 v[138:139], v[94:95], v[64:65]
	v_fma_f64 v[140:141], v[96:97], v[60:61], -v[140:141]
	s_waitcnt vmcnt(5)
	v_mul_f64 v[96:97], v[226:227], v[194:195]
	v_mul_f64 v[94:95], v[224:225], v[194:195]
	v_accvgpr_write_b32 a243, v195
	v_fmac_f64_e32 v[162:163], v[134:135], v[32:33]
	v_fma_f64 v[134:135], v[144:145], v[44:45], -v[172:173]
	v_mul_f64 v[144:145], v[110:111], v[58:59]
	v_fmac_f64_e32 v[142:143], v[98:99], v[60:61]
	v_fmac_f64_e32 v[146:147], v[110:111], v[56:57]
	s_waitcnt vmcnt(4)
	v_mul_f64 v[98:99], v[242:243], v[190:191]
	v_fma_f64 v[110:111], v[224:225], v[192:193], -v[96:97]
	v_accvgpr_write_b32 a242, v194
	v_accvgpr_write_b32 a241, v193
	v_accvgpr_write_b32 a240, v192
	v_fmac_f64_e32 v[94:95], v[226:227], v[192:193]
	s_waitcnt vmcnt(1)
	v_accvgpr_read_b32 v192, a222
	v_mul_f64 v[96:97], v[86:87], v[186:187]
	v_fma_f64 v[124:125], v[124:125], v[40:41], -v[152:153]
	v_mul_f64 v[152:153], v[114:115], v[54:55]
	v_fma_f64 v[144:145], v[108:109], v[56:57], -v[144:145]
	v_accvgpr_read_b32 v194, a224
	v_accvgpr_read_b32 v195, a225
	v_fma_f64 v[108:109], v[240:241], v[188:189], -v[98:99]
	v_fma_f64 v[96:97], v[84:85], v[184:185], -v[96:97]
	v_mul_f64 v[98:99], v[84:85], v[186:187]
	v_mul_f64 v[84:85], v[210:211], v[182:183]
	;; [unrolled: 1-line block ×4, first 2 shown]
	v_fma_f64 v[176:177], v[112:113], v[52:53], -v[152:153]
	v_accvgpr_read_b32 v193, a223
	v_fma_f64 v[112:113], v[208:209], v[180:181], -v[84:85]
	v_mul_f64 v[84:85], v[246:247], v[194:195]
	v_mul_f64 v[164:165], v[116:117], v[74:75]
	s_waitcnt lgkmcnt(0)
	v_mul_f64 v[168:169], v[122:123], v[70:71]
	v_fma_f64 v[178:179], v[116:117], v[72:73], -v[156:157]
	v_fma_f64 v[116:117], v[244:245], v[192:193], -v[84:85]
	s_waitcnt vmcnt(0)
	v_mul_f64 v[84:85], v[78:79], v[198:199]
	v_mul_f64 v[172:173], v[120:121], v[70:71]
	v_fma_f64 v[168:169], v[120:121], v[68:69], -v[168:169]
	v_fma_f64 v[120:121], v[76:77], v[196:197], -v[84:85]
	v_mul_f64 v[76:77], v[76:77], v[198:199]
	v_fmac_f64_e32 v[98:99], v[86:87], v[184:185]
	v_fmac_f64_e32 v[76:77], v[78:79], v[196:197]
	v_add_f64 v[78:79], v[124:125], v[134:135]
	v_add_f64 v[86:87], v[124:125], -v[134:135]
	v_add_f64 v[124:125], v[126:127], v[132:133]
	v_fmac_f64_e32 v[172:173], v[122:123], v[68:69]
	v_add_f64 v[84:85], v[154:155], v[174:175]
	v_add_f64 v[122:123], v[154:155], -v[174:175]
	v_add_f64 v[134:135], v[158:159], v[170:171]
	v_add_f64 v[126:127], v[126:127], -v[132:133]
	v_add_f64 v[152:153], v[128:129], v[130:131]
	v_add_f64 v[154:155], v[162:163], v[166:167]
	v_add_f64 v[128:129], v[130:131], -v[128:129]
	v_add_f64 v[156:157], v[124:125], v[78:79]
	v_add_f64 v[132:133], v[158:159], -v[170:171]
	v_add_f64 v[130:131], v[166:167], -v[162:163]
	v_add_f64 v[158:159], v[134:135], v[84:85]
	v_add_f64 v[162:163], v[124:125], -v[78:79]
	v_add_f64 v[166:167], v[134:135], -v[84:85]
	;; [unrolled: 1-line block ×5, first 2 shown]
	v_add_f64 v[84:85], v[128:129], v[126:127]
	v_add_f64 v[152:153], v[152:153], v[156:157]
	v_fmac_f64_e32 v[160:161], v[114:115], v[52:53]
	v_mul_f64 v[114:115], v[208:209], v[182:183]
	v_accvgpr_write_b32 a225, v183
	v_add_f64 v[134:135], v[154:155], -v[134:135]
	v_add_f64 v[154:155], v[154:155], v[158:159]
	v_add_f64 v[156:157], v[84:85], v[86:87]
	v_add_f64 v[84:85], v[88:89], v[152:153]
	v_accvgpr_write_b32 a224, v182
	v_accvgpr_write_b32 a223, v181
	;; [unrolled: 1-line block ×3, first 2 shown]
	v_fmac_f64_e32 v[114:115], v[210:211], v[180:181]
	v_add_f64 v[174:175], v[130:131], v[132:133]
	v_add_f64 v[180:181], v[128:129], -v[126:127]
	v_add_f64 v[182:183], v[130:131], -v[132:133]
	;; [unrolled: 1-line block ×5, first 2 shown]
	v_add_f64 v[86:87], v[90:91], v[154:155]
	v_mov_b64_e32 v[208:209], v[84:85]
	v_add_f64 v[130:131], v[122:123], -v[130:131]
	v_add_f64 v[122:123], v[174:175], v[122:123]
	v_mul_f64 v[78:79], v[78:79], s[22:23]
	v_mul_f64 v[88:89], v[170:171], s[22:23]
	;; [unrolled: 1-line block ×7, first 2 shown]
	v_fmac_f64_e32 v[208:209], s[24:25], v[152:153]
	v_mov_b64_e32 v[152:153], v[86:87]
	v_mul_f64 v[90:91], v[124:125], s[14:15]
	v_fmac_f64_e32 v[152:153], s[24:25], v[154:155]
	v_fma_f64 v[154:155], v[166:167], s[10:11], -v[158:159]
	v_fma_f64 v[158:159], v[162:163], s[18:19], -v[78:79]
	v_fmac_f64_e32 v[78:79], s[14:15], v[124:125]
	v_fma_f64 v[124:125], v[166:167], s[18:19], -v[88:89]
	v_fma_f64 v[126:127], v[126:127], s[2:3], -v[170:171]
	v_fmac_f64_e32 v[170:171], s[26:27], v[128:129]
	v_fma_f64 v[132:133], v[132:133], s[2:3], -v[174:175]
	v_fmac_f64_e32 v[174:175], s[26:27], v[130:131]
	v_fma_f64 v[128:129], v[128:129], s[28:29], -v[180:181]
	v_fma_f64 v[130:131], v[130:131], s[28:29], -v[182:183]
	;; [unrolled: 1-line block ×4, first 2 shown]
	v_fmac_f64_e32 v[88:89], s[14:15], v[134:135]
	v_add_f64 v[78:79], v[78:79], v[208:209]
	v_add_f64 v[134:135], v[154:155], v[152:153]
	;; [unrolled: 1-line block ×4, first 2 shown]
	v_fmac_f64_e32 v[174:175], s[20:21], v[122:123]
	v_fmac_f64_e32 v[128:129], s[20:21], v[156:157]
	;; [unrolled: 1-line block ×4, first 2 shown]
	v_mul_f64 v[92:93], v[240:241], v[190:191]
	v_mul_f64 v[118:119], v[244:245], v[194:195]
	v_add_f64 v[88:89], v[88:89], v[152:153]
	v_add_f64 v[90:91], v[90:91], v[208:209]
	v_fmac_f64_e32 v[170:171], s[20:21], v[156:157]
	v_fmac_f64_e32 v[126:127], s[20:21], v[156:157]
	;; [unrolled: 1-line block ×3, first 2 shown]
	v_add_f64 v[208:209], v[174:175], v[78:79]
	v_add_f64 v[224:225], v[130:131], v[154:155]
	v_add_f64 v[226:227], v[124:125], -v[128:129]
	v_add_f64 v[152:153], v[154:155], -v[130:131]
	v_add_f64 v[154:155], v[128:129], v[124:125]
	v_add_f64 v[156:157], v[78:79], -v[174:175]
	v_add_f64 v[78:79], v[136:137], v[168:169]
	v_add_f64 v[124:125], v[140:141], v[178:179]
	v_fmac_f64_e32 v[92:93], v[242:243], v[188:189]
	v_fmac_f64_e32 v[118:119], v[246:247], v[192:193]
	v_add_f64 v[210:211], v[88:89], -v[170:171]
	v_add_f64 v[240:241], v[90:91], -v[132:133]
	v_add_f64 v[242:243], v[126:127], v[134:135]
	v_add_f64 v[244:245], v[132:133], v[90:91]
	v_add_f64 v[246:247], v[134:135], -v[126:127]
	v_add_f64 v[158:159], v[170:171], v[88:89]
	v_add_f64 v[88:89], v[138:139], v[172:173]
	;; [unrolled: 1-line block ×3, first 2 shown]
	v_add_f64 v[128:129], v[140:141], -v[178:179]
	v_add_f64 v[132:133], v[144:145], v[176:177]
	v_add_f64 v[140:141], v[124:125], v[78:79]
	v_add_f64 v[90:91], v[136:137], -v[168:169]
	v_add_f64 v[130:131], v[142:143], -v[164:165]
	v_add_f64 v[134:135], v[146:147], v[160:161]
	v_add_f64 v[136:137], v[176:177], -v[144:145]
	v_add_f64 v[142:143], v[126:127], v[88:89]
	v_add_f64 v[144:145], v[124:125], -v[78:79]
	v_add_f64 v[78:79], v[78:79], -v[132:133]
	;; [unrolled: 1-line block ×3, first 2 shown]
	v_add_f64 v[132:133], v[132:133], v[140:141]
	v_add_f64 v[122:123], v[138:139], -v[172:173]
	v_add_f64 v[138:139], v[160:161], -v[146:147]
	;; [unrolled: 1-line block ×6, first 2 shown]
	v_add_f64 v[134:135], v[134:135], v[142:143]
	v_add_f64 v[216:217], v[216:217], v[132:133]
	;; [unrolled: 1-line block ×3, first 2 shown]
	v_add_f64 v[166:167], v[138:139], -v[130:131]
	v_add_f64 v[128:129], v[128:129], -v[90:91]
	v_add_f64 v[218:219], v[218:219], v[134:135]
	v_mul_f64 v[182:183], v[164:165], s[16:17]
	v_mov_b64_e32 v[164:165], v[216:217]
	v_add_f64 v[162:163], v[138:139], v[130:131]
	v_add_f64 v[136:137], v[90:91], -v[136:137]
	v_add_f64 v[130:131], v[130:131], -v[122:123]
	v_add_f64 v[90:91], v[160:161], v[90:91]
	v_mul_f64 v[78:79], v[78:79], s[22:23]
	v_mul_f64 v[88:89], v[88:89], s[22:23]
	;; [unrolled: 1-line block ×6, first 2 shown]
	v_fmac_f64_e32 v[164:165], s[24:25], v[132:133]
	v_mov_b64_e32 v[132:133], v[218:219]
	v_add_f64 v[138:139], v[122:123], -v[138:139]
	v_add_f64 v[122:123], v[162:163], v[122:123]
	v_mul_f64 v[162:163], v[130:131], s[2:3]
	v_fmac_f64_e32 v[132:133], s[24:25], v[134:135]
	v_fma_f64 v[134:135], v[144:145], s[10:11], -v[140:141]
	v_fma_f64 v[140:141], v[146:147], s[10:11], -v[142:143]
	;; [unrolled: 1-line block ×3, first 2 shown]
	v_fmac_f64_e32 v[78:79], s[14:15], v[124:125]
	v_fma_f64 v[124:125], v[146:147], s[18:19], -v[88:89]
	v_fmac_f64_e32 v[88:89], s[14:15], v[126:127]
	v_fma_f64 v[126:127], v[128:129], s[2:3], -v[182:183]
	v_fma_f64 v[128:129], v[130:131], s[2:3], -v[180:181]
	;; [unrolled: 1-line block ×3, first 2 shown]
	v_fmac_f64_e32 v[182:183], s[26:27], v[136:137]
	v_fmac_f64_e32 v[180:181], s[26:27], v[138:139]
	v_fma_f64 v[136:137], v[138:139], s[28:29], -v[162:163]
	v_add_f64 v[138:139], v[140:141], v[132:133]
	v_add_f64 v[124:125], v[124:125], v[132:133]
	v_fmac_f64_e32 v[126:127], s[20:21], v[90:91]
	v_fmac_f64_e32 v[130:131], s[20:21], v[90:91]
	v_add_f64 v[78:79], v[78:79], v[164:165]
	v_add_f64 v[88:89], v[88:89], v[132:133]
	v_fmac_f64_e32 v[182:183], s[20:21], v[90:91]
	v_fmac_f64_e32 v[180:181], s[20:21], v[122:123]
	v_fmac_f64_e32 v[128:129], s[20:21], v[122:123]
	v_fmac_f64_e32 v[136:137], s[20:21], v[122:123]
	v_add_f64 v[166:167], v[124:125], -v[130:131]
	v_add_f64 v[170:171], v[126:127], v[138:139]
	v_add_f64 v[174:175], v[138:139], -v[126:127]
	v_add_f64 v[178:179], v[130:131], v[124:125]
	v_add_f64 v[122:123], v[110:111], v[120:121]
	;; [unrolled: 1-line block ×3, first 2 shown]
	v_add_f64 v[126:127], v[110:111], -v[120:121]
	v_add_f64 v[110:111], v[108:109], v[116:117]
	v_add_f64 v[120:121], v[92:93], v[118:119]
	v_accvgpr_write_b32 a229, v187
	v_add_f64 v[134:135], v[134:135], v[164:165]
	v_add_f64 v[160:161], v[180:181], v[78:79]
	v_add_f64 v[162:163], v[88:89], -v[182:183]
	v_add_f64 v[180:181], v[78:79], -v[180:181]
	v_add_f64 v[182:183], v[182:183], v[88:89]
	v_add_f64 v[94:95], v[94:95], -v[76:77]
	v_add_f64 v[116:117], v[108:109], -v[116:117]
	;; [unrolled: 1-line block ×3, first 2 shown]
	v_add_f64 v[76:77], v[96:97], v[112:113]
	v_add_f64 v[78:79], v[98:99], v[114:115]
	v_add_f64 v[88:89], v[112:113], -v[96:97]
	v_add_f64 v[90:91], v[114:115], -v[98:99]
	v_add_f64 v[92:93], v[110:111], v[122:123]
	v_add_f64 v[96:97], v[120:121], v[124:125]
	v_accvgpr_write_b32 a228, v186
	v_accvgpr_write_b32 a227, v185
	v_accvgpr_write_b32 a226, v184
	v_add_f64 v[140:141], v[142:143], v[164:165]
	v_add_f64 v[168:169], v[134:135], -v[128:129]
	v_add_f64 v[172:173], v[128:129], v[134:135]
	v_add_f64 v[98:99], v[122:123], -v[76:77]
	v_add_f64 v[112:113], v[124:125], -v[78:79]
	;; [unrolled: 1-line block ×6, first 2 shown]
	v_add_f64 v[76:77], v[76:77], v[92:93]
	v_add_f64 v[78:79], v[78:79], v[96:97]
	;; [unrolled: 1-line block ×3, first 2 shown]
	v_add_f64 v[176:177], v[140:141], -v[136:137]
	v_add_f64 v[114:115], v[88:89], v[116:117]
	v_add_f64 v[118:119], v[90:91], v[108:109]
	v_add_f64 v[136:137], v[88:89], -v[116:117]
	v_add_f64 v[138:139], v[90:91], -v[108:109]
	v_add_f64 v[88:89], v[204:205], v[76:77]
	v_add_f64 v[90:91], v[206:207], v[78:79]
	v_mul_f64 v[128:129], v[98:99], s[22:23]
	v_mul_f64 v[140:141], v[112:113], s[22:23]
	;; [unrolled: 1-line block ×4, first 2 shown]
	v_add_f64 v[144:145], v[114:115], v[126:127]
	v_add_f64 v[146:147], v[118:119], v[94:95]
	v_fma_f64 v[114:115], s[24:25], v[76:77], v[88:89]
	v_fma_f64 v[118:119], s[24:25], v[78:79], v[90:91]
	;; [unrolled: 1-line block ×6, first 2 shown]
	v_accvgpr_write_b32 a235, v191
	v_accvgpr_write_b32 a251, v199
	v_add_f64 v[96:97], v[76:77], v[114:115]
	v_add_f64 v[112:113], v[78:79], v[118:119]
	v_fmac_f64_e32 v[98:99], s[20:21], v[144:145]
	v_fmac_f64_e32 v[92:93], s[20:21], v[146:147]
	v_accvgpr_write_b32 a234, v190
	v_accvgpr_write_b32 a233, v189
	;; [unrolled: 1-line block ×6, first 2 shown]
	v_add_f64 v[76:77], v[96:97], -v[92:93]
	v_add_f64 v[78:79], v[98:99], v[112:113]
	ds_write_b128 v148, v[84:87]
	ds_write_b128 v148, v[208:211] offset:2880
	ds_write_b128 v148, v[224:227] offset:5760
	;; [unrolled: 1-line block ×13, first 2 shown]
	s_and_saveexec_b64 s[22:23], s[0:1]
	s_cbranch_execz .LBB0_13
; %bb.12:
	v_mul_f64 v[132:133], v[132:133], s[14:15]
	v_mul_f64 v[134:135], v[134:135], s[14:15]
	v_add_f64 v[116:117], v[116:117], -v[126:127]
	s_mov_b32 s15, 0xbfebfeb5
	s_mov_b32 s14, s2
	v_mul_f64 v[144:145], v[144:145], s[20:21]
	v_fma_f64 v[84:85], v[116:117], s[14:15], -v[142:143]
	v_add_f64 v[120:121], v[120:121], -v[124:125]
	v_mul_f64 v[136:137], v[136:137], s[16:17]
	v_add_f64 v[126:127], v[144:145], v[84:85]
	v_fma_f64 v[84:85], v[120:121], s[18:19], -v[140:141]
	v_add_f64 v[122:123], v[110:111], -v[122:123]
	v_add_f64 v[94:95], v[108:109], -v[94:95]
	v_fma_f64 v[108:109], v[120:121], s[10:11], -v[134:135]
	v_mul_f64 v[138:139], v[138:139], s[16:17]
	v_add_f64 v[124:125], v[84:85], v[118:119]
	v_fma_f64 v[84:85], v[122:123], s[18:19], -v[128:129]
	v_add_f64 v[118:119], v[108:109], v[118:119]
	v_fma_f64 v[108:109], v[116:117], s[2:3], -v[136:137]
	v_mul_f64 v[146:147], v[146:147], s[20:21]
	v_add_f64 v[128:129], v[84:85], v[114:115]
	v_fma_f64 v[84:85], v[94:95], s[14:15], -v[130:131]
	v_add_f64 v[116:117], v[144:145], v[108:109]
	v_fma_f64 v[108:109], v[122:123], s[10:11], -v[132:133]
	v_fma_f64 v[94:95], v[94:95], s[2:3], -v[138:139]
	v_add_f64 v[130:131], v[146:147], v[84:85]
	v_add_f64 v[114:115], v[108:109], v[114:115]
	;; [unrolled: 1-line block ×4, first 2 shown]
	v_add_f64 v[84:85], v[128:129], -v[130:131]
	v_add_f64 v[110:111], v[118:119], -v[116:117]
	v_add_f64 v[108:109], v[94:95], v[114:115]
	v_add_f64 v[116:117], v[116:117], v[118:119]
	v_add_f64 v[114:115], v[114:115], -v[94:95]
	v_add_f64 v[120:121], v[124:125], -v[126:127]
	v_add_f64 v[118:119], v[130:131], v[128:129]
	v_add_f64 v[94:95], v[112:113], -v[98:99]
	v_add_f64 v[92:93], v[92:93], v[96:97]
	ds_write_b128 v148, v[88:91] offset:2016
	ds_write_b128 v148, v[92:95] offset:4896
	;; [unrolled: 1-line block ×7, first 2 shown]
.LBB0_13:
	s_or_b64 exec, exec, s[22:23]
	v_lshlrev_b32_e32 v84, 4, v150
	v_mov_b32_e32 v85, 0
	v_lshl_add_u64 v[86:87], s[8:9], 0, v[84:85]
	s_mov_b64 s[2:3], 0x4ec0
	v_lshl_add_u64 v[88:89], v[86:87], 0, s[2:3]
	s_movk_i32 s2, 0x4000
	v_add_co_u32_e64 v84, s[2:3], s2, v86
	s_waitcnt lgkmcnt(0)
	s_nop 0
	v_addc_co_u32_e64 v85, s[2:3], 0, v87, s[2:3]
	; wave barrier
	global_load_dwordx4 v[94:97], v[84:85], off offset:3776
	ds_read_b128 v[90:93], v148
	s_movk_i32 s2, 0x7000
	v_accvgpr_read_b32 v176, a230
	v_accvgpr_read_b32 v247, a85
	;; [unrolled: 1-line block ×7, first 2 shown]
	s_waitcnt vmcnt(0) lgkmcnt(0)
	v_mul_f64 v[84:85], v[92:93], v[96:97]
	v_fma_f64 v[108:109], v[90:91], v[94:95], -v[84:85]
	v_add_co_u32_e64 v84, s[2:3], s2, v86
	v_mul_f64 v[110:111], v[90:91], v[96:97]
	s_nop 0
	v_addc_co_u32_e64 v85, s[2:3], 0, v87, s[2:3]
	v_fmac_f64_e32 v[110:111], v[92:93], v[94:95]
	global_load_dwordx4 v[94:97], v[84:85], off offset:1568
	ds_read_b128 v[90:93], v148 offset:10080
	ds_write_b128 v148, v[108:111]
	s_mov_b32 s2, 0x8000
	s_waitcnt vmcnt(0) lgkmcnt(1)
	v_mul_f64 v[98:99], v[92:93], v[96:97]
	v_mul_f64 v[110:111], v[90:91], v[96:97]
	v_fma_f64 v[108:109], v[90:91], v[94:95], -v[98:99]
	v_fmac_f64_e32 v[110:111], v[92:93], v[94:95]
	global_load_dwordx4 v[94:97], v[88:89], off offset:1008
	ds_read_b128 v[90:93], v148 offset:1008
	ds_write_b128 v148, v[108:111] offset:10080
	s_waitcnt vmcnt(0) lgkmcnt(1)
	v_mul_f64 v[98:99], v[92:93], v[96:97]
	v_mul_f64 v[110:111], v[90:91], v[96:97]
	v_fma_f64 v[108:109], v[90:91], v[94:95], -v[98:99]
	v_fmac_f64_e32 v[110:111], v[92:93], v[94:95]
	global_load_dwordx4 v[94:97], v[84:85], off offset:2576
	ds_read_b128 v[90:93], v148 offset:11088
	ds_write_b128 v148, v[108:111] offset:1008
	;; [unrolled: 8-line block ×5, first 2 shown]
	s_waitcnt vmcnt(0) lgkmcnt(1)
	v_mul_f64 v[98:99], v[92:93], v[96:97]
	v_fma_f64 v[108:109], v[90:91], v[94:95], -v[98:99]
	v_mul_f64 v[110:111], v[90:91], v[96:97]
	v_add_co_u32_e64 v90, s[2:3], s2, v86
	v_fmac_f64_e32 v[110:111], v[92:93], v[94:95]
	s_nop 0
	v_addc_co_u32_e64 v91, s[2:3], 0, v87, s[2:3]
	global_load_dwordx4 v[96:99], v[90:91], off offset:496
	ds_read_b128 v[92:95], v148 offset:13104
	ds_write_b128 v148, v[108:111] offset:3024
	s_movk_i32 s2, 0x6000
	s_waitcnt vmcnt(0) lgkmcnt(1)
	v_mul_f64 v[108:109], v[94:95], v[98:99]
	v_mul_f64 v[110:111], v[92:93], v[98:99]
	v_fma_f64 v[108:109], v[92:93], v[96:97], -v[108:109]
	v_fmac_f64_e32 v[110:111], v[94:95], v[96:97]
	global_load_dwordx4 v[96:99], v[88:89], off offset:4032
	ds_read_b128 v[92:95], v148 offset:4032
	ds_write_b128 v148, v[108:111] offset:13104
	s_waitcnt vmcnt(0) lgkmcnt(1)
	v_mul_f64 v[88:89], v[94:95], v[98:99]
	v_mul_f64 v[110:111], v[92:93], v[98:99]
	v_fma_f64 v[108:109], v[92:93], v[96:97], -v[88:89]
	v_fmac_f64_e32 v[110:111], v[94:95], v[96:97]
	global_load_dwordx4 v[96:99], v[90:91], off offset:1504
	ds_read_b128 v[92:95], v148 offset:14112
	ds_write_b128 v148, v[108:111] offset:4032
	s_waitcnt vmcnt(0) lgkmcnt(1)
	v_mul_f64 v[88:89], v[94:95], v[98:99]
	v_fma_f64 v[108:109], v[92:93], v[96:97], -v[88:89]
	v_add_co_u32_e64 v88, s[2:3], s2, v86
	v_mul_f64 v[110:111], v[92:93], v[98:99]
	s_nop 0
	v_addc_co_u32_e64 v89, s[2:3], 0, v87, s[2:3]
	v_fmac_f64_e32 v[110:111], v[94:95], v[96:97]
	global_load_dwordx4 v[96:99], v[88:89], off offset:624
	ds_read_b128 v[92:95], v148 offset:5040
	ds_write_b128 v148, v[108:111] offset:14112
	s_mov_b32 s2, 0x9000
	s_waitcnt vmcnt(0) lgkmcnt(1)
	v_mul_f64 v[108:109], v[94:95], v[98:99]
	v_mul_f64 v[110:111], v[92:93], v[98:99]
	v_fma_f64 v[108:109], v[92:93], v[96:97], -v[108:109]
	v_fmac_f64_e32 v[110:111], v[94:95], v[96:97]
	global_load_dwordx4 v[96:99], v[90:91], off offset:2512
	ds_read_b128 v[92:95], v148 offset:15120
	ds_write_b128 v148, v[108:111] offset:5040
	s_waitcnt vmcnt(0) lgkmcnt(1)
	v_mul_f64 v[108:109], v[94:95], v[98:99]
	v_mul_f64 v[110:111], v[92:93], v[98:99]
	v_fma_f64 v[108:109], v[92:93], v[96:97], -v[108:109]
	v_fmac_f64_e32 v[110:111], v[94:95], v[96:97]
	global_load_dwordx4 v[96:99], v[88:89], off offset:1632
	ds_read_b128 v[92:95], v148 offset:6048
	ds_write_b128 v148, v[108:111] offset:15120
	;; [unrolled: 8-line block ×3, first 2 shown]
	s_waitcnt vmcnt(0) lgkmcnt(1)
	v_mul_f64 v[90:91], v[94:95], v[98:99]
	v_fma_f64 v[90:91], v[92:93], v[96:97], -v[90:91]
	v_mul_f64 v[92:93], v[92:93], v[98:99]
	v_fmac_f64_e32 v[92:93], v[94:95], v[96:97]
	global_load_dwordx4 v[94:97], v[88:89], off offset:2640
	ds_write_b128 v148, v[90:93] offset:16128
	ds_read_b128 v[90:93], v148 offset:7056
	s_waitcnt vmcnt(0) lgkmcnt(0)
	v_mul_f64 v[98:99], v[92:93], v[96:97]
	v_fma_f64 v[108:109], v[90:91], v[94:95], -v[98:99]
	v_mul_f64 v[110:111], v[90:91], v[96:97]
	v_add_co_u32_e64 v90, s[2:3], s2, v86
	v_fmac_f64_e32 v[110:111], v[92:93], v[94:95]
	s_nop 0
	v_addc_co_u32_e64 v91, s[2:3], 0, v87, s[2:3]
	global_load_dwordx4 v[96:99], v[90:91], off offset:432
	ds_read_b128 v[92:95], v148 offset:17136
	ds_write_b128 v148, v[108:111] offset:7056
	s_waitcnt vmcnt(0) lgkmcnt(1)
	v_mul_f64 v[86:87], v[94:95], v[98:99]
	v_fma_f64 v[108:109], v[92:93], v[96:97], -v[86:87]
	global_load_dwordx4 v[86:89], v[88:89], off offset:3648
	v_mul_f64 v[110:111], v[92:93], v[98:99]
	v_fmac_f64_e32 v[110:111], v[94:95], v[96:97]
	ds_read_b128 v[92:95], v148 offset:8064
	ds_write_b128 v148, v[108:111] offset:17136
	s_waitcnt vmcnt(0) lgkmcnt(1)
	v_mul_f64 v[96:97], v[94:95], v[88:89]
	v_mul_f64 v[98:99], v[92:93], v[88:89]
	v_fma_f64 v[96:97], v[92:93], v[86:87], -v[96:97]
	v_fmac_f64_e32 v[98:99], v[94:95], v[86:87]
	global_load_dwordx4 v[92:95], v[90:91], off offset:1440
	ds_read_b128 v[86:89], v148 offset:18144
	ds_write_b128 v148, v[96:99] offset:8064
	s_waitcnt vmcnt(0) lgkmcnt(1)
	v_mul_f64 v[96:97], v[88:89], v[94:95]
	v_mul_f64 v[98:99], v[86:87], v[94:95]
	v_fma_f64 v[96:97], v[86:87], v[92:93], -v[96:97]
	v_fmac_f64_e32 v[98:99], v[88:89], v[92:93]
	global_load_dwordx4 v[92:95], v[84:85], off offset:560
	ds_read_b128 v[86:89], v148 offset:9072
	ds_write_b128 v148, v[96:99] offset:18144
	s_waitcnt vmcnt(0) lgkmcnt(1)
	v_mul_f64 v[84:85], v[88:89], v[94:95]
	v_fma_f64 v[84:85], v[86:87], v[92:93], -v[84:85]
	v_mul_f64 v[86:87], v[86:87], v[94:95]
	v_fmac_f64_e32 v[86:87], v[88:89], v[92:93]
	global_load_dwordx4 v[88:91], v[90:91], off offset:2448
	ds_write_b128 v148, v[84:87] offset:9072
	ds_read_b128 v[84:87], v148 offset:19152
	s_waitcnt vmcnt(0) lgkmcnt(0)
	v_mul_f64 v[92:93], v[86:87], v[90:91]
	v_mul_f64 v[94:95], v[84:85], v[90:91]
	v_fma_f64 v[92:93], v[84:85], v[88:89], -v[92:93]
	v_fmac_f64_e32 v[94:95], v[86:87], v[88:89]
	ds_write_b128 v148, v[92:95] offset:19152
	s_waitcnt lgkmcnt(0)
	; wave barrier
	s_waitcnt lgkmcnt(0)
	ds_read_b128 v[84:87], v148
	ds_read_b128 v[88:91], v148 offset:10080
	ds_read_b128 v[92:95], v148 offset:1008
	;; [unrolled: 1-line block ×19, first 2 shown]
	s_waitcnt lgkmcnt(14)
	v_add_f64 v[88:89], v[84:85], -v[88:89]
	v_add_f64 v[90:91], v[86:87], -v[90:91]
	v_fma_f64 v[84:85], v[84:85], 2.0, -v[88:89]
	v_fma_f64 v[86:87], v[86:87], 2.0, -v[90:91]
	s_waitcnt lgkmcnt(0)
	; wave barrier
	s_waitcnt lgkmcnt(0)
	ds_write_b128 v176, v[84:87]
	ds_write_b128 v176, v[88:91] offset:16
	scratch_load_dword v84, off, off        ; 4-byte Folded Reload
	v_add_f64 v[96:97], v[92:93], -v[96:97]
	v_add_f64 v[98:99], v[94:95], -v[98:99]
	v_fma_f64 v[92:93], v[92:93], 2.0, -v[96:97]
	v_fma_f64 v[94:95], v[94:95], 2.0, -v[98:99]
	v_add_f64 v[112:113], v[108:109], -v[112:113]
	v_add_f64 v[114:115], v[110:111], -v[114:115]
	v_fma_f64 v[108:109], v[108:109], 2.0, -v[112:113]
	v_fma_f64 v[110:111], v[110:111], 2.0, -v[114:115]
	v_add_f64 v[120:121], v[116:117], -v[120:121]
	v_add_f64 v[122:123], v[118:119], -v[122:123]
	s_waitcnt vmcnt(0)
	ds_write_b128 v84, v[92:95]
	ds_write_b128 v84, v[96:99] offset:16
	v_accvgpr_read_b32 v84, a86
	v_fma_f64 v[116:117], v[116:117], 2.0, -v[120:121]
	v_fma_f64 v[118:119], v[118:119], 2.0, -v[122:123]
	v_add_f64 v[128:129], v[124:125], -v[128:129]
	v_add_f64 v[130:131], v[126:127], -v[130:131]
	ds_write_b128 v84, v[108:111]
	ds_write_b128 v84, v[112:115] offset:16
	v_accvgpr_read_b32 v84, a87
	v_fma_f64 v[124:125], v[124:125], 2.0, -v[128:129]
	v_fma_f64 v[126:127], v[126:127], 2.0, -v[130:131]
	v_add_f64 v[136:137], v[132:133], -v[136:137]
	v_add_f64 v[138:139], v[134:135], -v[138:139]
	;; [unrolled: 7-line block ×6, first 2 shown]
	ds_write_b128 v84, v[152:155]
	ds_write_b128 v84, v[156:159] offset:16
	v_accvgpr_read_b32 v84, a92
	v_fma_f64 v[168:169], v[168:169], 2.0, -v[172:173]
	v_fma_f64 v[170:171], v[170:171], 2.0, -v[174:175]
	ds_write_b128 v84, v[160:163]
	ds_write_b128 v84, v[164:167] offset:16
	v_accvgpr_read_b32 v84, a93
	ds_write_b128 v84, v[168:171]
	ds_write_b128 v84, v[172:175] offset:16
	s_waitcnt lgkmcnt(0)
	; wave barrier
	s_waitcnt lgkmcnt(0)
	ds_read_b128 v[84:87], v148
	ds_read_b128 v[88:91], v148 offset:10080
	ds_read_b128 v[92:95], v148 offset:1008
	;; [unrolled: 1-line block ×19, first 2 shown]
	s_waitcnt lgkmcnt(14)
	v_mul_f64 v[176:177], v[82:83], v[90:91]
	v_fmac_f64_e32 v[176:177], v[80:81], v[88:89]
	v_mul_f64 v[88:89], v[82:83], v[88:89]
	v_fma_f64 v[90:91], v[80:81], v[90:91], -v[88:89]
	v_mul_f64 v[178:179], v[246:247], v[98:99]
	v_mul_f64 v[88:89], v[246:247], v[96:97]
	v_fmac_f64_e32 v[178:179], v[180:181], v[96:97]
	v_fma_f64 v[180:181], v[180:181], v[98:99], -v[88:89]
	v_accvgpr_read_b32 v96, a96
	v_mul_f64 v[88:89], v[82:83], v[112:113]
	v_accvgpr_read_b32 v98, a98
	v_accvgpr_read_b32 v99, a99
	v_fma_f64 v[184:185], v[80:81], v[114:115], -v[88:89]
	v_accvgpr_read_b32 v97, a97
	s_waitcnt lgkmcnt(12)
	v_mul_f64 v[186:187], v[98:99], v[122:123]
	v_mul_f64 v[88:89], v[98:99], v[120:121]
	v_fmac_f64_e32 v[186:187], v[96:97], v[120:121]
	v_fma_f64 v[204:205], v[96:97], v[122:123], -v[88:89]
	v_accvgpr_read_b32 v96, a100
	s_waitcnt lgkmcnt(10)
	v_mul_f64 v[88:89], v[82:83], v[128:129]
	v_accvgpr_read_b32 v98, a102
	v_accvgpr_read_b32 v99, a103
	v_fma_f64 v[208:209], v[80:81], v[130:131], -v[88:89]
	v_accvgpr_read_b32 v97, a101
	s_waitcnt lgkmcnt(8)
	v_mul_f64 v[210:211], v[98:99], v[138:139]
	v_mul_f64 v[88:89], v[98:99], v[136:137]
	v_fmac_f64_e32 v[210:211], v[96:97], v[136:137]
	v_fma_f64 v[216:217], v[96:97], v[138:139], -v[88:89]
	v_accvgpr_read_b32 v96, a104
	s_waitcnt lgkmcnt(6)
	v_mul_f64 v[88:89], v[82:83], v[144:145]
	v_accvgpr_read_b32 v98, a106
	v_accvgpr_read_b32 v99, a107
	v_fma_f64 v[224:225], v[80:81], v[146:147], -v[88:89]
	v_accvgpr_read_b32 v97, a105
	s_waitcnt lgkmcnt(4)
	v_mul_f64 v[88:89], v[98:99], v[156:157]
	v_fma_f64 v[240:241], v[96:97], v[158:159], -v[88:89]
	v_accvgpr_read_b32 v88, a108
	v_mul_f64 v[182:183], v[82:83], v[114:115]
	v_mul_f64 v[206:207], v[82:83], v[130:131]
	;; [unrolled: 1-line block ×3, first 2 shown]
	s_waitcnt lgkmcnt(2)
	v_mul_f64 v[242:243], v[82:83], v[166:167]
	v_mul_f64 v[82:83], v[82:83], v[164:165]
	v_accvgpr_read_b32 v89, a109
	v_fmac_f64_e32 v[182:183], v[80:81], v[112:113]
	v_fmac_f64_e32 v[206:207], v[80:81], v[128:129]
	;; [unrolled: 1-line block ×4, first 2 shown]
	v_fma_f64 v[80:81], v[80:81], v[166:167], -v[82:83]
	s_waitcnt lgkmcnt(0)
	v_mul_f64 v[82:83], v[88:89], v[174:175]
	v_mul_f64 v[88:89], v[88:89], v[172:173]
	;; [unrolled: 1-line block ×3, first 2 shown]
	v_fmac_f64_e32 v[82:83], v[244:245], v[172:173]
	v_fma_f64 v[244:245], v[244:245], v[174:175], -v[88:89]
	v_add_f64 v[88:89], v[84:85], -v[176:177]
	v_fmac_f64_e32 v[226:227], v[96:97], v[156:157]
	v_add_f64 v[90:91], v[86:87], -v[90:91]
	v_fma_f64 v[96:97], v[84:85], 2.0, -v[88:89]
	v_add_f64 v[84:85], v[168:169], -v[82:83]
	v_fma_f64 v[98:99], v[86:87], 2.0, -v[90:91]
	v_add_f64 v[112:113], v[92:93], -v[178:179]
	v_add_f64 v[114:115], v[94:95], -v[180:181]
	;; [unrolled: 1-line block ×3, first 2 shown]
	v_fma_f64 v[80:81], v[168:169], 2.0, -v[84:85]
	v_accvgpr_read_b32 v168, a110
	v_fma_f64 v[92:93], v[92:93], 2.0, -v[112:113]
	v_fma_f64 v[94:95], v[94:95], 2.0, -v[114:115]
	v_add_f64 v[120:121], v[108:109], -v[182:183]
	v_add_f64 v[122:123], v[110:111], -v[184:185]
	s_waitcnt lgkmcnt(0)
	; wave barrier
	ds_write_b128 v168, v[96:99]
	ds_write_b128 v168, v[88:91] offset:32
	v_accvgpr_read_b32 v88, a111
	v_fma_f64 v[108:109], v[108:109], 2.0, -v[120:121]
	v_fma_f64 v[110:111], v[110:111], 2.0, -v[122:123]
	v_add_f64 v[128:129], v[116:117], -v[186:187]
	v_add_f64 v[130:131], v[118:119], -v[204:205]
	ds_write_b128 v88, v[92:95]
	ds_write_b128 v88, v[112:115] offset:32
	v_accvgpr_read_b32 v88, a112
	v_fma_f64 v[116:117], v[116:117], 2.0, -v[128:129]
	v_fma_f64 v[118:119], v[118:119], 2.0, -v[130:131]
	v_add_f64 v[136:137], v[124:125], -v[206:207]
	v_add_f64 v[138:139], v[126:127], -v[208:209]
	;; [unrolled: 7-line block ×5, first 2 shown]
	ds_write_b128 v88, v[132:135]
	ds_write_b128 v88, v[144:147] offset:32
	v_accvgpr_read_b32 v88, a116
	v_fma_f64 v[152:153], v[152:153], 2.0, -v[164:165]
	v_fma_f64 v[154:155], v[154:155], 2.0, -v[166:167]
	v_add_f64 v[172:173], v[160:161], -v[242:243]
	ds_write_b128 v88, v[140:143]
	ds_write_b128 v88, v[156:159] offset:32
	v_accvgpr_read_b32 v88, a117
	v_fma_f64 v[160:161], v[160:161], 2.0, -v[172:173]
	v_fma_f64 v[162:163], v[162:163], 2.0, -v[174:175]
	v_add_f64 v[86:87], v[170:171], -v[244:245]
	ds_write_b128 v88, v[152:155]
	ds_write_b128 v88, v[164:167] offset:32
	v_accvgpr_read_b32 v88, a118
	v_fma_f64 v[82:83], v[170:171], 2.0, -v[86:87]
	ds_write_b128 v88, v[160:163]
	ds_write_b128 v88, v[172:175] offset:32
	v_accvgpr_read_b32 v88, a119
	ds_write_b128 v88, v[80:83]
	ds_write_b128 v88, v[84:87] offset:32
	s_waitcnt lgkmcnt(0)
	; wave barrier
	s_waitcnt lgkmcnt(0)
	ds_read_b128 v[108:111], v148
	ds_read_b128 v[240:243], v148 offset:6720
	ds_read_b128 v[144:147], v148 offset:13440
	;; [unrolled: 1-line block ×17, first 2 shown]
	s_and_saveexec_b64 s[2:3], vcc
	s_cbranch_execz .LBB0_15
; %bb.14:
	ds_read_b128 v[80:83], v148 offset:6048
	ds_read_b128 v[84:87], v148 offset:12768
	;; [unrolled: 1-line block ×3, first 2 shown]
.LBB0_15:
	s_or_b64 exec, exec, s[2:3]
	s_waitcnt lgkmcnt(14)
	v_mul_f64 v[156:157], v[102:103], v[146:147]
	v_accvgpr_read_b32 v181, a125
	v_fmac_f64_e32 v[156:157], v[100:101], v[144:145]
	v_mul_f64 v[144:145], v[102:103], v[144:145]
	v_accvgpr_read_b32 v180, a124
	v_accvgpr_read_b32 v161, a121
	v_fma_f64 v[144:145], v[100:101], v[146:147], -v[144:145]
	s_waitcnt lgkmcnt(13)
	v_mul_f64 v[146:147], v[180:181], v[226:227]
	v_accvgpr_read_b32 v160, a120
	v_mul_f64 v[158:159], v[180:181], v[224:225]
	v_accvgpr_read_b32 v185, a129
	v_fmac_f64_e32 v[146:147], v[160:161], v[224:225]
	v_fma_f64 v[158:159], v[160:161], v[226:227], -v[158:159]
	v_accvgpr_read_b32 v184, a128
	v_accvgpr_read_b32 v227, a133
	s_waitcnt lgkmcnt(12)
	v_mul_f64 v[160:161], v[184:185], v[218:219]
	v_accvgpr_read_b32 v226, a132
	v_mul_f64 v[162:163], v[184:185], v[216:217]
	v_fmac_f64_e32 v[160:161], v[226:227], v[216:217]
	v_fma_f64 v[162:163], v[226:227], v[218:219], -v[162:163]
	v_accvgpr_read_b32 v219, a139
	v_accvgpr_read_b32 v247, a147
	v_mul_f64 v[152:153], v[106:107], v[242:243]
	v_mul_f64 v[154:155], v[106:107], v[240:241]
	v_accvgpr_read_b32 v218, a138
	v_accvgpr_read_b32 v167, a135
	;; [unrolled: 1-line block ×4, first 2 shown]
	v_fmac_f64_e32 v[152:153], v[104:105], v[240:241]
	v_fma_f64 v[154:155], v[104:105], v[242:243], -v[154:155]
	v_accvgpr_read_b32 v217, a137
	v_accvgpr_read_b32 v216, a136
	s_waitcnt lgkmcnt(10)
	v_mul_f64 v[164:165], v[218:219], v[142:143]
	v_accvgpr_read_b32 v166, a134
	v_accvgpr_read_b32 v243, a143
	s_waitcnt lgkmcnt(1)
	v_mul_f64 v[184:185], v[244:245], v[86:87]
	v_fmac_f64_e32 v[164:165], v[166:167], v[140:141]
	v_mul_f64 v[140:141], v[218:219], v[140:141]
	v_accvgpr_read_b32 v242, a142
	v_fmac_f64_e32 v[184:185], v[216:217], v[84:85]
	v_mul_f64 v[84:85], v[244:245], v[84:85]
	v_accvgpr_read_b32 v225, a131
	v_accvgpr_read_b32 v224, a130
	v_fma_f64 v[140:141], v[166:167], v[142:143], -v[140:141]
	v_mul_f64 v[142:143], v[242:243], v[130:131]
	v_accvgpr_read_b32 v246, a146
	v_accvgpr_read_b32 v171, a155
	v_mul_f64 v[172:173], v[102:103], v[114:115]
	v_mul_f64 v[102:103], v[102:103], v[112:113]
	v_fma_f64 v[186:187], v[216:217], v[86:87], -v[84:85]
	v_accvgpr_read_b32 v84, a158
	v_accvgpr_read_b32 v179, a123
	;; [unrolled: 1-line block ×3, first 2 shown]
	v_fmac_f64_e32 v[142:143], v[246:247], v[128:129]
	v_mul_f64 v[128:129], v[242:243], v[128:129]
	v_accvgpr_read_b32 v170, a154
	v_fmac_f64_e32 v[172:173], v[100:101], v[112:113]
	v_fma_f64 v[174:175], v[100:101], v[114:115], -v[102:103]
	v_mul_f64 v[176:177], v[224:225], v[122:123]
	v_mul_f64 v[100:101], v[224:225], v[120:121]
	v_accvgpr_read_b32 v85, a159
	v_accvgpr_read_b32 v241, a141
	;; [unrolled: 1-line block ×3, first 2 shown]
	v_fma_f64 v[128:129], v[246:247], v[130:131], -v[128:129]
	v_accvgpr_read_b32 v169, a153
	v_accvgpr_read_b32 v168, a152
	v_mul_f64 v[166:167], v[170:171], v[138:139]
	v_mul_f64 v[130:131], v[170:171], v[136:137]
	v_fmac_f64_e32 v[176:177], v[178:179], v[120:121]
	v_fma_f64 v[178:179], v[178:179], v[122:123], -v[100:101]
	v_accvgpr_read_b32 v100, a156
	s_waitcnt lgkmcnt(0)
	v_mul_f64 v[216:217], v[84:85], v[78:79]
	v_fmac_f64_e32 v[166:167], v[168:169], v[136:137]
	v_fma_f64 v[136:137], v[168:169], v[138:139], -v[130:131]
	v_accvgpr_read_b32 v171, a151
	v_accvgpr_read_b32 v101, a157
	v_fmac_f64_e32 v[216:217], v[240:241], v[76:77]
	v_mul_f64 v[76:77], v[84:85], v[76:77]
	v_accvgpr_read_b32 v183, a127
	v_accvgpr_read_b32 v182, a126
	;; [unrolled: 1-line block ×3, first 2 shown]
	v_mul_f64 v[180:181], v[100:101], v[118:119]
	v_mul_f64 v[100:101], v[100:101], v[116:117]
	v_fma_f64 v[78:79], v[240:241], v[78:79], -v[76:77]
	v_add_f64 v[76:77], v[108:109], v[152:153]
	v_accvgpr_read_b32 v169, a149
	v_accvgpr_read_b32 v168, a148
	v_mul_f64 v[138:139], v[170:171], v[134:135]
	v_mul_f64 v[130:131], v[170:171], v[132:133]
	v_fmac_f64_e32 v[180:181], v[182:183], v[116:117]
	v_fma_f64 v[182:183], v[182:183], v[118:119], -v[100:101]
	v_add_f64 v[100:101], v[76:77], v[156:157]
	v_add_f64 v[76:77], v[152:153], v[156:157]
	s_mov_b32 s2, 0xe8584caa
	v_fmac_f64_e32 v[138:139], v[168:169], v[132:133]
	v_fma_f64 v[134:135], v[168:169], v[134:135], -v[130:131]
	v_mul_f64 v[168:169], v[106:107], v[126:127]
	v_mul_f64 v[106:107], v[106:107], v[124:125]
	v_fmac_f64_e32 v[108:109], -0.5, v[76:77]
	v_add_f64 v[76:77], v[154:155], -v[144:145]
	s_mov_b32 s3, 0xbfebb67a
	s_mov_b32 s9, 0x3febb67a
	;; [unrolled: 1-line block ×3, first 2 shown]
	v_fmac_f64_e32 v[168:169], v[104:105], v[124:125]
	v_fma_f64 v[170:171], v[104:105], v[126:127], -v[106:107]
	v_fma_f64 v[104:105], s[2:3], v[76:77], v[108:109]
	v_fmac_f64_e32 v[108:109], s[8:9], v[76:77]
	v_add_f64 v[76:77], v[110:111], v[154:155]
	v_add_f64 v[102:103], v[76:77], v[144:145]
	v_add_f64 v[76:77], v[154:155], v[144:145]
	v_fmac_f64_e32 v[110:111], -0.5, v[76:77]
	v_add_f64 v[76:77], v[152:153], -v[156:157]
	v_fma_f64 v[106:107], s[8:9], v[76:77], v[110:111]
	v_fmac_f64_e32 v[110:111], s[2:3], v[76:77]
	v_add_f64 v[76:77], v[208:209], v[146:147]
	v_add_f64 v[112:113], v[76:77], v[160:161]
	v_add_f64 v[76:77], v[146:147], v[160:161]
	v_fmac_f64_e32 v[208:209], -0.5, v[76:77]
	v_add_f64 v[76:77], v[158:159], -v[162:163]
	;; [unrolled: 7-line block ×13, first 2 shown]
	v_fma_f64 v[78:79], s[8:9], v[156:157], v[82:83]
	v_fmac_f64_e32 v[82:83], s[2:3], v[156:157]
	v_accvgpr_read_b32 v156, a160
	s_waitcnt lgkmcnt(0)
	; wave barrier
	ds_write_b128 v156, v[100:103]
	ds_write_b128 v156, v[104:107] offset:64
	ds_write_b128 v156, v[108:111] offset:128
	v_accvgpr_read_b32 v100, a161
	ds_write_b128 v100, v[112:115]
	ds_write_b128 v100, v[116:119] offset:64
	ds_write_b128 v100, v[208:211] offset:128
	v_accvgpr_read_b32 v100, a162
	;; [unrolled: 4-line block ×5, first 2 shown]
	ds_write_b128 v92, v[144:147]
	ds_write_b128 v92, v[152:155] offset:64
	ds_write_b128 v92, v[88:91] offset:128
	s_and_saveexec_b64 s[2:3], vcc
	s_cbranch_execz .LBB0_17
; %bb.16:
	scratch_load_dword v89, off, off offset:4 ; 4-byte Folded Reload
	v_accvgpr_read_b32 v88, a166
	v_mul_u32_u24_e32 v88, 12, v88
	s_waitcnt vmcnt(0)
	v_or_b32_e32 v88, v88, v89
	v_lshlrev_b32_e32 v88, 4, v88
	ds_write_b128 v88, v[84:87]
	ds_write_b128 v88, v[76:79] offset:64
	ds_write_b128 v88, v[80:83] offset:128
.LBB0_17:
	s_or_b64 exec, exec, s[2:3]
	s_waitcnt lgkmcnt(0)
	; wave barrier
	s_waitcnt lgkmcnt(0)
	ds_read_b128 v[108:111], v148
	ds_read_b128 v[104:107], v148 offset:1008
	ds_read_b128 v[216:219], v148 offset:6720
	ds_read_b128 v[204:207], v148 offset:7728
	ds_read_b128 v[208:211], v148 offset:13440
	ds_read_b128 v[140:143], v148 offset:14448
	ds_read_b128 v[100:103], v148 offset:2016
	ds_read_b128 v[96:99], v148 offset:3024
	ds_read_b128 v[144:147], v148 offset:8736
	ds_read_b128 v[132:135], v148 offset:9744
	ds_read_b128 v[136:139], v148 offset:15456
	ds_read_b128 v[124:127], v148 offset:16464
	ds_read_b128 v[92:95], v148 offset:4032
	ds_read_b128 v[88:91], v148 offset:5040
	ds_read_b128 v[128:131], v148 offset:10752
	ds_read_b128 v[116:119], v148 offset:11760
	ds_read_b128 v[120:123], v148 offset:17472
	ds_read_b128 v[112:115], v148 offset:18480
	s_and_saveexec_b64 s[2:3], vcc
	s_cbranch_execz .LBB0_19
; %bb.18:
	ds_read_b128 v[84:87], v148 offset:6048
	ds_read_b128 v[76:79], v148 offset:12768
	;; [unrolled: 1-line block ×3, first 2 shown]
.LBB0_19:
	s_or_b64 exec, exec, s[2:3]
	v_accvgpr_read_b32 v156, a172
	v_accvgpr_read_b32 v158, a174
	;; [unrolled: 1-line block ×5, first 2 shown]
	s_waitcnt lgkmcnt(14)
	v_mul_f64 v[152:153], v[158:159], v[218:219]
	v_mul_f64 v[154:155], v[158:159], v[216:217]
	v_accvgpr_read_b32 v162, a170
	v_accvgpr_read_b32 v163, a171
	;; [unrolled: 1-line block ×3, first 2 shown]
	v_fmac_f64_e32 v[152:153], v[156:157], v[216:217]
	v_fma_f64 v[154:155], v[156:157], v[218:219], -v[154:155]
	v_accvgpr_read_b32 v161, a169
	s_waitcnt lgkmcnt(13)
	v_mul_f64 v[156:157], v[162:163], v[210:211]
	v_mul_f64 v[158:159], v[162:163], v[208:209]
	v_accvgpr_read_b32 v166, a182
	v_accvgpr_read_b32 v167, a183
	v_fmac_f64_e32 v[156:157], v[160:161], v[208:209]
	v_fma_f64 v[158:159], v[160:161], v[210:211], -v[158:159]
	v_mul_f64 v[160:161], v[166:167], v[206:207]
	v_mul_f64 v[162:163], v[166:167], v[204:205]
	v_accvgpr_read_b32 v166, a176
	v_accvgpr_read_b32 v165, a181
	;; [unrolled: 1-line block ×4, first 2 shown]
	v_fmac_f64_e32 v[160:161], v[164:165], v[204:205]
	v_fma_f64 v[162:163], v[164:165], v[206:207], -v[162:163]
	v_accvgpr_read_b32 v167, a177
	s_waitcnt lgkmcnt(12)
	v_mul_f64 v[164:165], v[168:169], v[142:143]
	v_fmac_f64_e32 v[164:165], v[166:167], v[140:141]
	v_mul_f64 v[140:141], v[168:169], v[140:141]
	v_accvgpr_read_b32 v168, a188
	v_accvgpr_read_b32 v170, a190
	v_accvgpr_read_b32 v171, a191
	v_fma_f64 v[140:141], v[166:167], v[142:143], -v[140:141]
	v_accvgpr_read_b32 v169, a189
	s_waitcnt lgkmcnt(9)
	v_mul_f64 v[166:167], v[170:171], v[146:147]
	v_mul_f64 v[142:143], v[170:171], v[144:145]
	v_fmac_f64_e32 v[166:167], v[168:169], v[144:145]
	v_fma_f64 v[146:147], v[168:169], v[146:147], -v[142:143]
	v_accvgpr_read_b32 v142, a184
	v_accvgpr_read_b32 v144, a186
	;; [unrolled: 1-line block ×4, first 2 shown]
	s_waitcnt lgkmcnt(7)
	v_mul_f64 v[168:169], v[144:145], v[138:139]
	v_fmac_f64_e32 v[168:169], v[142:143], v[136:137]
	v_mul_f64 v[136:137], v[144:145], v[136:137]
	v_fma_f64 v[170:171], v[142:143], v[138:139], -v[136:137]
	v_accvgpr_read_b32 v136, a196
	v_accvgpr_read_b32 v138, a198
	;; [unrolled: 1-line block ×4, first 2 shown]
	v_mul_f64 v[172:173], v[138:139], v[134:135]
	v_fmac_f64_e32 v[172:173], v[136:137], v[132:133]
	v_mul_f64 v[132:133], v[138:139], v[132:133]
	v_fma_f64 v[174:175], v[136:137], v[134:135], -v[132:133]
	v_accvgpr_read_b32 v132, a192
	v_accvgpr_read_b32 v134, a194
	;; [unrolled: 1-line block ×4, first 2 shown]
	s_waitcnt lgkmcnt(6)
	v_mul_f64 v[176:177], v[134:135], v[126:127]
	v_fmac_f64_e32 v[176:177], v[132:133], v[124:125]
	v_mul_f64 v[124:125], v[134:135], v[124:125]
	v_fma_f64 v[178:179], v[132:133], v[126:127], -v[124:125]
	v_accvgpr_read_b32 v132, a204
	v_accvgpr_read_b32 v134, a206
	;; [unrolled: 1-line block ×4, first 2 shown]
	s_waitcnt lgkmcnt(3)
	v_mul_f64 v[124:125], v[134:135], v[128:129]
	v_fma_f64 v[182:183], v[132:133], v[130:131], -v[124:125]
	v_accvgpr_read_b32 v124, a200
	v_accvgpr_read_b32 v126, a202
	;; [unrolled: 1-line block ×4, first 2 shown]
	s_waitcnt lgkmcnt(1)
	v_mul_f64 v[184:185], v[126:127], v[122:123]
	v_fmac_f64_e32 v[184:185], v[124:125], v[120:121]
	v_mul_f64 v[120:121], v[126:127], v[120:121]
	v_fma_f64 v[120:121], v[124:125], v[122:123], -v[120:121]
	v_accvgpr_read_b32 v124, a212
	v_accvgpr_read_b32 v126, a214
	;; [unrolled: 1-line block ×4, first 2 shown]
	v_mul_f64 v[122:123], v[126:127], v[118:119]
	v_fmac_f64_e32 v[122:123], v[124:125], v[116:117]
	v_mul_f64 v[116:117], v[126:127], v[116:117]
	v_fma_f64 v[118:119], v[124:125], v[118:119], -v[116:117]
	v_accvgpr_read_b32 v124, a208
	v_accvgpr_read_b32 v126, a210
	;; [unrolled: 1-line block ×4, first 2 shown]
	s_waitcnt lgkmcnt(0)
	v_mul_f64 v[186:187], v[126:127], v[114:115]
	v_fmac_f64_e32 v[186:187], v[124:125], v[112:113]
	v_mul_f64 v[112:113], v[126:127], v[112:113]
	v_fma_f64 v[204:205], v[124:125], v[114:115], -v[112:113]
	v_accvgpr_read_b32 v114, a244
	v_accvgpr_read_b32 v116, a246
	;; [unrolled: 1-line block ×4, first 2 shown]
	v_mul_f64 v[112:113], v[116:117], v[78:79]
	v_accvgpr_read_b32 v124, a236
	v_fmac_f64_e32 v[112:113], v[114:115], v[76:77]
	v_mul_f64 v[76:77], v[116:117], v[76:77]
	v_accvgpr_read_b32 v126, a238
	v_accvgpr_read_b32 v127, a239
	v_fma_f64 v[116:117], v[114:115], v[78:79], -v[76:77]
	v_accvgpr_read_b32 v125, a237
	v_mul_f64 v[114:115], v[126:127], v[82:83]
	v_mul_f64 v[76:77], v[126:127], v[80:81]
	v_fmac_f64_e32 v[114:115], v[124:125], v[80:81]
	v_fma_f64 v[80:81], v[124:125], v[82:83], -v[76:77]
	v_add_f64 v[76:77], v[108:109], v[152:153]
	v_add_f64 v[124:125], v[76:77], v[156:157]
	;; [unrolled: 1-line block ×3, first 2 shown]
	s_mov_b32 s8, 0xe8584caa
	v_mul_f64 v[180:181], v[134:135], v[130:131]
	v_fmac_f64_e32 v[108:109], -0.5, v[76:77]
	v_add_f64 v[76:77], v[154:155], -v[158:159]
	s_mov_b32 s9, 0xbfebb67a
	s_mov_b32 s3, 0x3febb67a
	;; [unrolled: 1-line block ×3, first 2 shown]
	v_fmac_f64_e32 v[180:181], v[132:133], v[128:129]
	v_fma_f64 v[128:129], s[8:9], v[76:77], v[108:109]
	v_fmac_f64_e32 v[108:109], s[2:3], v[76:77]
	v_add_f64 v[76:77], v[110:111], v[154:155]
	v_add_f64 v[126:127], v[76:77], v[158:159]
	v_add_f64 v[76:77], v[154:155], v[158:159]
	v_fmac_f64_e32 v[110:111], -0.5, v[76:77]
	v_add_f64 v[76:77], v[152:153], -v[156:157]
	v_fma_f64 v[130:131], s[2:3], v[76:77], v[110:111]
	v_fmac_f64_e32 v[110:111], s[8:9], v[76:77]
	v_add_f64 v[76:77], v[104:105], v[160:161]
	v_add_f64 v[132:133], v[76:77], v[164:165]
	v_add_f64 v[76:77], v[160:161], v[164:165]
	v_fmac_f64_e32 v[104:105], -0.5, v[76:77]
	v_add_f64 v[76:77], v[162:163], -v[140:141]
	;; [unrolled: 7-line block ×10, first 2 shown]
	v_fma_f64 v[172:173], s[8:9], v[76:77], v[88:89]
	v_fmac_f64_e32 v[88:89], s[2:3], v[76:77]
	v_add_f64 v[76:77], v[90:91], v[118:119]
	v_accvgpr_read_b32 v176, a167
	v_add_f64 v[170:171], v[76:77], v[204:205]
	v_add_f64 v[76:77], v[118:119], v[204:205]
	s_waitcnt lgkmcnt(0)
	; wave barrier
	ds_write_b128 v176, v[124:127]
	ds_write_b128 v176, v[128:131] offset:192
	ds_write_b128 v176, v[108:111] offset:384
	v_accvgpr_read_b32 v108, a216
	v_fmac_f64_e32 v[90:91], -0.5, v[76:77]
	v_add_f64 v[76:77], v[122:123], -v[186:187]
	ds_write_b128 v108, v[132:135]
	ds_write_b128 v108, v[136:139] offset:192
	ds_write_b128 v108, v[104:107] offset:384
	v_accvgpr_read_b32 v104, a218
	v_fma_f64 v[174:175], s[2:3], v[76:77], v[90:91]
	v_fmac_f64_e32 v[90:91], s[8:9], v[76:77]
	v_add_f64 v[76:77], v[112:113], v[114:115]
	v_add_f64 v[78:79], v[116:117], v[80:81]
	ds_write_b128 v104, v[140:143]
	ds_write_b128 v104, v[144:147] offset:192
	ds_write_b128 v104, v[100:103] offset:384
	v_accvgpr_read_b32 v100, a219
	v_fma_f64 v[82:83], -0.5, v[76:77], v[84:85]
	v_add_f64 v[118:119], v[116:117], -v[80:81]
	v_fma_f64 v[120:121], -0.5, v[78:79], v[86:87]
	v_add_f64 v[122:123], v[112:113], -v[114:115]
	ds_write_b128 v100, v[152:155]
	ds_write_b128 v100, v[156:159] offset:192
	ds_write_b128 v100, v[96:99] offset:384
	v_accvgpr_read_b32 v96, a220
	v_fma_f64 v[76:77], s[2:3], v[118:119], v[82:83]
	v_fma_f64 v[78:79], s[8:9], v[122:123], v[120:121]
	ds_write_b128 v96, v[160:163]
	ds_write_b128 v96, v[164:167] offset:192
	ds_write_b128 v96, v[92:95] offset:384
	v_accvgpr_read_b32 v92, a221
	ds_write_b128 v92, v[168:171]
	ds_write_b128 v92, v[172:175] offset:192
	ds_write_b128 v92, v[88:91] offset:384
	s_and_saveexec_b64 s[8:9], vcc
	s_cbranch_execz .LBB0_21
; %bb.20:
	v_add_f64 v[86:87], v[86:87], v[116:117]
	v_mul_f64 v[90:91], v[118:119], s[2:3]
	v_add_f64 v[92:93], v[86:87], v[80:81]
	v_add_f64 v[80:81], v[84:85], v[112:113]
	v_add_f64 v[86:87], v[82:83], -v[90:91]
	v_add_f64 v[90:91], v[80:81], v[114:115]
	v_accvgpr_read_b32 v80, a217
	v_mul_f64 v[88:89], v[122:123], s[2:3]
	v_lshlrev_b32_e32 v80, 4, v80
	v_add_f64 v[88:89], v[88:89], v[120:121]
	ds_write_b128 v80, v[90:93]
	ds_write_b128 v80, v[86:89] offset:192
	ds_write_b128 v80, v[76:79] offset:384
.LBB0_21:
	s_or_b64 exec, exec, s[8:9]
	s_waitcnt lgkmcnt(0)
	; wave barrier
	s_waitcnt lgkmcnt(0)
	ds_read_b128 v[84:87], v148
	ds_read_b128 v[88:91], v148 offset:1008
	ds_read_b128 v[96:99], v148 offset:4032
	;; [unrolled: 1-line block ×19, first 2 shown]
	s_waitcnt lgkmcnt(14)
	v_mul_f64 v[146:147], v[222:223], v[98:99]
	v_fmac_f64_e32 v[146:147], v[220:221], v[96:97]
	v_mul_f64 v[96:97], v[222:223], v[96:97]
	v_fma_f64 v[176:177], v[220:221], v[98:99], -v[96:97]
	v_mul_f64 v[178:179], v[214:215], v[106:107]
	v_mul_f64 v[96:97], v[214:215], v[104:105]
	v_accvgpr_read_b32 v136, a252
	v_fmac_f64_e32 v[178:179], v[212:213], v[104:105]
	v_fma_f64 v[104:105], v[212:213], v[106:107], -v[96:97]
	s_waitcnt lgkmcnt(13)
	v_mul_f64 v[106:107], v[202:203], v[114:115]
	v_mul_f64 v[96:97], v[202:203], v[112:113]
	v_accvgpr_read_b32 v138, a254
	v_accvgpr_read_b32 v139, a255
	v_fmac_f64_e32 v[106:107], v[200:201], v[112:113]
	v_fma_f64 v[112:113], v[200:201], v[114:115], -v[96:97]
	v_accvgpr_read_b32 v137, a253
	s_waitcnt lgkmcnt(11)
	v_mul_f64 v[98:99], v[138:139], v[122:123]
	v_mul_f64 v[96:97], v[138:139], v[120:121]
	v_fmac_f64_e32 v[98:99], v[136:137], v[120:121]
	v_fma_f64 v[114:115], v[136:137], v[122:123], -v[96:97]
	s_waitcnt lgkmcnt(7)
	v_mul_f64 v[136:137], v[6:7], v[130:131]
	v_mul_f64 v[6:7], v[6:7], v[128:129]
	s_waitcnt lgkmcnt(5)
	v_mul_f64 v[138:139], v[2:3], v[134:135]
	v_mul_f64 v[2:3], v[2:3], v[132:133]
	v_fmac_f64_e32 v[136:137], v[4:5], v[128:129]
	v_fma_f64 v[4:5], v[4:5], v[130:131], -v[6:7]
	v_fmac_f64_e32 v[138:139], v[0:1], v[132:133]
	v_fma_f64 v[6:7], v[0:1], v[134:135], -v[2:3]
	s_waitcnt lgkmcnt(3)
	v_mul_f64 v[0:1], v[254:255], v[160:161]
	v_mul_f64 v[96:97], v[238:239], v[100:101]
	v_fma_f64 v[134:135], v[252:253], v[162:163], -v[0:1]
	s_waitcnt lgkmcnt(1)
	v_mul_f64 v[142:143], v[10:11], v[170:171]
	v_mul_f64 v[0:1], v[10:11], v[168:169]
	v_fma_f64 v[144:145], v[236:237], v[102:103], -v[96:97]
	v_mul_f64 v[96:97], v[234:235], v[108:109]
	v_fmac_f64_e32 v[142:143], v[8:9], v[168:169]
	v_fma_f64 v[8:9], v[8:9], v[170:171], -v[0:1]
	v_mul_f64 v[0:1], v[26:27], v[152:153]
	v_fma_f64 v[184:185], v[232:233], v[110:111], -v[96:97]
	v_mul_f64 v[96:97], v[230:231], v[116:117]
	v_fma_f64 v[120:121], v[24:25], v[154:155], -v[0:1]
	v_mul_f64 v[0:1], v[22:23], v[156:157]
	v_mul_f64 v[186:187], v[230:231], v[118:119]
	v_fma_f64 v[188:189], v[228:229], v[118:119], -v[96:97]
	v_mul_f64 v[118:119], v[250:251], v[126:127]
	v_fma_f64 v[122:123], v[20:21], v[158:159], -v[0:1]
	v_mul_f64 v[0:1], v[18:19], v[164:165]
	v_fmac_f64_e32 v[118:119], v[248:249], v[124:125]
	v_mul_f64 v[96:97], v[250:251], v[124:125]
	v_fma_f64 v[124:125], v[16:17], v[166:167], -v[0:1]
	s_waitcnt lgkmcnt(0)
	v_mul_f64 v[0:1], v[14:15], v[172:173]
	v_fma_f64 v[190:191], v[248:249], v[126:127], -v[96:97]
	v_fma_f64 v[126:127], v[12:13], v[174:175], -v[0:1]
	v_add_f64 v[0:1], v[84:85], v[146:147]
	v_add_f64 v[0:1], v[0:1], v[178:179]
	v_mul_f64 v[10:11], v[26:27], v[154:155]
	v_add_f64 v[0:1], v[0:1], v[106:107]
	v_fmac_f64_e32 v[10:11], v[24:25], v[152:153]
	v_mul_f64 v[128:129], v[22:23], v[158:159]
	v_add_f64 v[24:25], v[0:1], v[98:99]
	v_add_f64 v[0:1], v[178:179], v[106:107]
	s_mov_b32 s8, 0x134454ff
	v_fmac_f64_e32 v[128:129], v[20:21], v[156:157]
	v_mul_f64 v[132:133], v[14:15], v[174:175]
	v_fma_f64 v[20:21], -0.5, v[0:1], v[84:85]
	v_add_f64 v[0:1], v[176:177], -v[114:115]
	s_mov_b32 s9, 0xbfee6f0e
	s_mov_b32 s2, 0x4755a5e
	;; [unrolled: 1-line block ×4, first 2 shown]
	v_fmac_f64_e32 v[132:133], v[12:13], v[172:173]
	v_fma_f64 v[96:97], s[8:9], v[0:1], v[20:21]
	v_add_f64 v[2:3], v[104:105], -v[112:113]
	s_mov_b32 s3, 0xbfe2cf23
	v_add_f64 v[12:13], v[146:147], -v[178:179]
	v_add_f64 v[14:15], v[98:99], -v[106:107]
	s_mov_b32 s10, 0x372fe950
	v_fmac_f64_e32 v[20:21], s[14:15], v[0:1]
	s_mov_b32 s17, 0x3fe2cf23
	s_mov_b32 s16, s2
	v_fmac_f64_e32 v[96:97], s[2:3], v[2:3]
	v_add_f64 v[12:13], v[12:13], v[14:15]
	s_mov_b32 s11, 0x3fd3c6ef
	v_fmac_f64_e32 v[20:21], s[16:17], v[2:3]
	v_fmac_f64_e32 v[96:97], s[10:11], v[12:13]
	;; [unrolled: 1-line block ×3, first 2 shown]
	v_add_f64 v[12:13], v[146:147], v[98:99]
	v_mul_f64 v[180:181], v[238:239], v[102:103]
	v_fmac_f64_e32 v[84:85], -0.5, v[12:13]
	v_fmac_f64_e32 v[180:181], v[236:237], v[100:101]
	v_fma_f64 v[100:101], s[14:15], v[2:3], v[84:85]
	v_fmac_f64_e32 v[84:85], s[8:9], v[2:3]
	v_fmac_f64_e32 v[100:101], s[2:3], v[0:1]
	;; [unrolled: 1-line block ×3, first 2 shown]
	v_add_f64 v[0:1], v[86:87], v[176:177]
	v_add_f64 v[0:1], v[0:1], v[104:105]
	;; [unrolled: 1-line block ×3, first 2 shown]
	v_add_f64 v[12:13], v[178:179], -v[146:147]
	v_add_f64 v[14:15], v[106:107], -v[98:99]
	v_add_f64 v[26:27], v[0:1], v[114:115]
	v_add_f64 v[0:1], v[104:105], v[112:113]
	;; [unrolled: 1-line block ×3, first 2 shown]
	v_fma_f64 v[22:23], -0.5, v[0:1], v[86:87]
	v_add_f64 v[0:1], v[146:147], -v[98:99]
	v_fmac_f64_e32 v[100:101], s[10:11], v[12:13]
	v_fmac_f64_e32 v[84:85], s[10:11], v[12:13]
	v_fma_f64 v[98:99], s[14:15], v[0:1], v[22:23]
	v_add_f64 v[2:3], v[178:179], -v[106:107]
	v_add_f64 v[12:13], v[176:177], -v[104:105]
	;; [unrolled: 1-line block ×3, first 2 shown]
	v_fmac_f64_e32 v[22:23], s[8:9], v[0:1]
	v_fmac_f64_e32 v[98:99], s[16:17], v[2:3]
	v_add_f64 v[12:13], v[12:13], v[14:15]
	v_fmac_f64_e32 v[22:23], s[2:3], v[2:3]
	v_fmac_f64_e32 v[98:99], s[10:11], v[12:13]
	;; [unrolled: 1-line block ×3, first 2 shown]
	v_add_f64 v[12:13], v[176:177], v[114:115]
	v_fmac_f64_e32 v[86:87], -0.5, v[12:13]
	v_mul_f64 v[182:183], v[234:235], v[110:111]
	v_fma_f64 v[102:103], s[8:9], v[2:3], v[86:87]
	v_fmac_f64_e32 v[86:87], s[14:15], v[2:3]
	v_fmac_f64_e32 v[182:183], v[232:233], v[108:109]
	;; [unrolled: 1-line block ×4, first 2 shown]
	v_add_f64 v[0:1], v[88:89], v[180:181]
	v_fmac_f64_e32 v[186:187], v[228:229], v[116:117]
	v_add_f64 v[0:1], v[0:1], v[182:183]
	v_add_f64 v[0:1], v[0:1], v[186:187]
	v_add_f64 v[12:13], v[104:105], -v[176:177]
	v_add_f64 v[14:15], v[112:113], -v[114:115]
	v_add_f64 v[108:109], v[0:1], v[118:119]
	v_add_f64 v[0:1], v[182:183], v[186:187]
	;; [unrolled: 1-line block ×3, first 2 shown]
	v_fma_f64 v[104:105], -0.5, v[0:1], v[88:89]
	v_add_f64 v[0:1], v[144:145], -v[190:191]
	v_fmac_f64_e32 v[102:103], s[10:11], v[12:13]
	v_fmac_f64_e32 v[86:87], s[10:11], v[12:13]
	v_fma_f64 v[112:113], s[8:9], v[0:1], v[104:105]
	v_add_f64 v[2:3], v[184:185], -v[188:189]
	v_add_f64 v[12:13], v[180:181], -v[182:183]
	;; [unrolled: 1-line block ×3, first 2 shown]
	v_fmac_f64_e32 v[104:105], s[14:15], v[0:1]
	v_fmac_f64_e32 v[112:113], s[2:3], v[2:3]
	v_add_f64 v[12:13], v[12:13], v[14:15]
	v_fmac_f64_e32 v[104:105], s[16:17], v[2:3]
	v_fmac_f64_e32 v[112:113], s[10:11], v[12:13]
	;; [unrolled: 1-line block ×3, first 2 shown]
	v_add_f64 v[12:13], v[180:181], v[118:119]
	v_fmac_f64_e32 v[88:89], -0.5, v[12:13]
	v_fma_f64 v[116:117], s[14:15], v[2:3], v[88:89]
	v_fmac_f64_e32 v[88:89], s[8:9], v[2:3]
	v_fmac_f64_e32 v[116:117], s[2:3], v[0:1]
	;; [unrolled: 1-line block ×3, first 2 shown]
	v_add_f64 v[0:1], v[90:91], v[144:145]
	v_add_f64 v[0:1], v[0:1], v[184:185]
	;; [unrolled: 1-line block ×3, first 2 shown]
	v_add_f64 v[12:13], v[182:183], -v[180:181]
	v_add_f64 v[14:15], v[186:187], -v[118:119]
	v_add_f64 v[110:111], v[0:1], v[190:191]
	v_add_f64 v[0:1], v[184:185], v[188:189]
	;; [unrolled: 1-line block ×3, first 2 shown]
	v_fma_f64 v[106:107], -0.5, v[0:1], v[90:91]
	v_add_f64 v[0:1], v[180:181], -v[118:119]
	v_fmac_f64_e32 v[116:117], s[10:11], v[12:13]
	v_fmac_f64_e32 v[88:89], s[10:11], v[12:13]
	v_fma_f64 v[114:115], s[14:15], v[0:1], v[106:107]
	v_add_f64 v[2:3], v[182:183], -v[186:187]
	v_add_f64 v[12:13], v[144:145], -v[184:185]
	v_add_f64 v[14:15], v[190:191], -v[188:189]
	v_fmac_f64_e32 v[106:107], s[8:9], v[0:1]
	v_fmac_f64_e32 v[114:115], s[16:17], v[2:3]
	v_add_f64 v[12:13], v[12:13], v[14:15]
	v_fmac_f64_e32 v[106:107], s[2:3], v[2:3]
	v_fmac_f64_e32 v[114:115], s[10:11], v[12:13]
	;; [unrolled: 1-line block ×3, first 2 shown]
	v_add_f64 v[12:13], v[144:145], v[190:191]
	v_fmac_f64_e32 v[90:91], -0.5, v[12:13]
	v_fma_f64 v[118:119], s[8:9], v[2:3], v[90:91]
	v_fmac_f64_e32 v[90:91], s[14:15], v[2:3]
	v_mul_f64 v[140:141], v[254:255], v[162:163]
	v_fmac_f64_e32 v[118:119], s[16:17], v[0:1]
	v_fmac_f64_e32 v[90:91], s[2:3], v[0:1]
	v_add_f64 v[0:1], v[92:93], v[136:137]
	v_fmac_f64_e32 v[140:141], v[252:253], v[160:161]
	v_add_f64 v[0:1], v[0:1], v[138:139]
	v_add_f64 v[0:1], v[0:1], v[140:141]
	v_add_f64 v[12:13], v[184:185], -v[144:145]
	v_add_f64 v[14:15], v[188:189], -v[190:191]
	v_add_f64 v[144:145], v[0:1], v[142:143]
	v_add_f64 v[0:1], v[138:139], v[140:141]
	v_mul_f64 v[130:131], v[18:19], v[166:167]
	v_add_f64 v[12:13], v[12:13], v[14:15]
	v_fma_f64 v[0:1], -0.5, v[0:1], v[92:93]
	v_add_f64 v[2:3], v[4:5], -v[8:9]
	v_fmac_f64_e32 v[130:131], v[16:17], v[164:165]
	v_fmac_f64_e32 v[118:119], s[10:11], v[12:13]
	v_fmac_f64_e32 v[90:91], s[10:11], v[12:13]
	v_fma_f64 v[152:153], s[8:9], v[2:3], v[0:1]
	v_add_f64 v[12:13], v[6:7], -v[134:135]
	v_add_f64 v[14:15], v[136:137], -v[138:139]
	;; [unrolled: 1-line block ×3, first 2 shown]
	v_fmac_f64_e32 v[0:1], s[14:15], v[2:3]
	v_fmac_f64_e32 v[152:153], s[2:3], v[12:13]
	v_add_f64 v[14:15], v[14:15], v[16:17]
	v_fmac_f64_e32 v[0:1], s[16:17], v[12:13]
	v_fmac_f64_e32 v[152:153], s[10:11], v[14:15]
	;; [unrolled: 1-line block ×3, first 2 shown]
	v_add_f64 v[14:15], v[136:137], v[142:143]
	v_fmac_f64_e32 v[92:93], -0.5, v[14:15]
	v_fma_f64 v[156:157], s[14:15], v[12:13], v[92:93]
	v_fmac_f64_e32 v[92:93], s[8:9], v[12:13]
	v_fmac_f64_e32 v[156:157], s[2:3], v[2:3]
	v_fmac_f64_e32 v[92:93], s[16:17], v[2:3]
	v_add_f64 v[2:3], v[94:95], v[4:5]
	v_add_f64 v[2:3], v[2:3], v[6:7]
	;; [unrolled: 1-line block ×3, first 2 shown]
	v_add_f64 v[14:15], v[138:139], -v[136:137]
	v_add_f64 v[16:17], v[140:141], -v[142:143]
	v_add_f64 v[146:147], v[2:3], v[8:9]
	v_add_f64 v[2:3], v[6:7], v[134:135]
	;; [unrolled: 1-line block ×3, first 2 shown]
	v_fma_f64 v[2:3], -0.5, v[2:3], v[94:95]
	v_add_f64 v[12:13], v[136:137], -v[142:143]
	v_fmac_f64_e32 v[156:157], s[10:11], v[14:15]
	v_fmac_f64_e32 v[92:93], s[10:11], v[14:15]
	v_fma_f64 v[154:155], s[14:15], v[12:13], v[2:3]
	v_add_f64 v[14:15], v[138:139], -v[140:141]
	v_add_f64 v[16:17], v[4:5], -v[6:7]
	v_add_f64 v[18:19], v[8:9], -v[134:135]
	v_fmac_f64_e32 v[2:3], s[8:9], v[12:13]
	v_fmac_f64_e32 v[154:155], s[16:17], v[14:15]
	v_add_f64 v[16:17], v[16:17], v[18:19]
	v_fmac_f64_e32 v[2:3], s[2:3], v[14:15]
	v_fmac_f64_e32 v[154:155], s[10:11], v[16:17]
	;; [unrolled: 1-line block ×3, first 2 shown]
	v_add_f64 v[16:17], v[4:5], v[8:9]
	v_add_f64 v[4:5], v[6:7], -v[4:5]
	v_add_f64 v[6:7], v[134:135], -v[8:9]
	v_fmac_f64_e32 v[94:95], -0.5, v[16:17]
	v_add_f64 v[4:5], v[4:5], v[6:7]
	v_add_f64 v[6:7], v[128:129], v[130:131]
	v_fma_f64 v[158:159], s[8:9], v[14:15], v[94:95]
	v_fmac_f64_e32 v[94:95], s[14:15], v[14:15]
	v_fma_f64 v[16:17], -0.5, v[6:7], v[80:81]
	v_add_f64 v[6:7], v[120:121], -v[126:127]
	v_fmac_f64_e32 v[158:159], s[16:17], v[12:13]
	v_fmac_f64_e32 v[94:95], s[2:3], v[12:13]
	v_fma_f64 v[8:9], s[8:9], v[6:7], v[16:17]
	v_add_f64 v[14:15], v[122:123], -v[124:125]
	v_add_f64 v[12:13], v[10:11], -v[128:129]
	;; [unrolled: 1-line block ×3, first 2 shown]
	v_fmac_f64_e32 v[16:17], s[14:15], v[6:7]
	v_fmac_f64_e32 v[8:9], s[2:3], v[14:15]
	v_add_f64 v[12:13], v[12:13], v[18:19]
	v_fmac_f64_e32 v[16:17], s[16:17], v[14:15]
	v_fmac_f64_e32 v[8:9], s[10:11], v[12:13]
	v_fmac_f64_e32 v[16:17], s[10:11], v[12:13]
	v_add_f64 v[12:13], v[10:11], v[132:133]
	v_fmac_f64_e32 v[158:159], s[10:11], v[4:5]
	v_fmac_f64_e32 v[94:95], s[10:11], v[4:5]
	v_add_f64 v[4:5], v[80:81], v[10:11]
	v_fmac_f64_e32 v[80:81], -0.5, v[12:13]
	v_add_f64 v[4:5], v[4:5], v[128:129]
	v_fma_f64 v[12:13], s[14:15], v[14:15], v[80:81]
	v_add_f64 v[18:19], v[128:129], -v[10:11]
	v_add_f64 v[134:135], v[130:131], -v[132:133]
	v_fmac_f64_e32 v[80:81], s[8:9], v[14:15]
	v_add_f64 v[4:5], v[4:5], v[130:131]
	v_fmac_f64_e32 v[12:13], s[2:3], v[6:7]
	v_add_f64 v[18:19], v[18:19], v[134:135]
	;; [unrolled: 2-line block ×3, first 2 shown]
	v_add_f64 v[4:5], v[4:5], v[132:133]
	v_fmac_f64_e32 v[12:13], s[10:11], v[18:19]
	v_fmac_f64_e32 v[80:81], s[10:11], v[18:19]
	v_fma_f64 v[18:19], -0.5, v[14:15], v[82:83]
	v_add_f64 v[132:133], v[10:11], -v[132:133]
	v_fma_f64 v[10:11], s[14:15], v[132:133], v[18:19]
	v_add_f64 v[128:129], v[128:129], -v[130:131]
	v_add_f64 v[14:15], v[120:121], -v[122:123]
	;; [unrolled: 1-line block ×3, first 2 shown]
	v_fmac_f64_e32 v[18:19], s[8:9], v[132:133]
	v_fmac_f64_e32 v[10:11], s[16:17], v[128:129]
	v_add_f64 v[14:15], v[14:15], v[130:131]
	v_fmac_f64_e32 v[18:19], s[2:3], v[128:129]
	v_fmac_f64_e32 v[10:11], s[10:11], v[14:15]
	;; [unrolled: 1-line block ×3, first 2 shown]
	v_add_f64 v[14:15], v[120:121], v[126:127]
	v_add_f64 v[6:7], v[82:83], v[120:121]
	v_fmac_f64_e32 v[82:83], -0.5, v[14:15]
	v_add_f64 v[6:7], v[6:7], v[122:123]
	v_fma_f64 v[14:15], s[8:9], v[128:129], v[82:83]
	v_add_f64 v[120:121], v[122:123], -v[120:121]
	v_add_f64 v[122:123], v[124:125], -v[126:127]
	v_fmac_f64_e32 v[82:83], s[14:15], v[128:129]
	v_fmac_f64_e32 v[14:15], s[16:17], v[132:133]
	v_add_f64 v[120:121], v[120:121], v[122:123]
	v_fmac_f64_e32 v[82:83], s[2:3], v[132:133]
	v_fmac_f64_e32 v[14:15], s[10:11], v[120:121]
	;; [unrolled: 1-line block ×3, first 2 shown]
	v_accvgpr_read_b32 v120, a21
	v_add_f64 v[6:7], v[6:7], v[124:125]
	s_waitcnt lgkmcnt(0)
	; wave barrier
	ds_write_b128 v120, v[24:27]
	ds_write_b128 v120, v[96:99] offset:576
	ds_write_b128 v120, v[100:103] offset:1152
	;; [unrolled: 1-line block ×4, first 2 shown]
	ds_write_b128 v151, v[108:111]
	ds_write_b128 v151, v[112:115] offset:576
	ds_write_b128 v151, v[116:119] offset:1152
	;; [unrolled: 1-line block ×4, first 2 shown]
	v_accvgpr_read_b32 v20, a231
	v_add_f64 v[6:7], v[6:7], v[126:127]
	ds_write_b128 v20, v[144:147]
	ds_write_b128 v20, v[152:155] offset:576
	ds_write_b128 v20, v[156:159] offset:1152
	;; [unrolled: 1-line block ×4, first 2 shown]
	ds_write_b128 v149, v[4:7]
	ds_write_b128 v149, v[8:11] offset:576
	ds_write_b128 v149, v[12:15] offset:1152
	;; [unrolled: 1-line block ×4, first 2 shown]
	s_waitcnt lgkmcnt(0)
	; wave barrier
	s_waitcnt lgkmcnt(0)
	ds_read_b128 v[24:27], v148
	ds_read_b128 v[20:23], v148 offset:1008
	ds_read_b128 v[128:131], v148 offset:2880
	;; [unrolled: 1-line block ×13, first 2 shown]
	s_and_saveexec_b64 s[2:3], s[0:1]
	s_cbranch_execz .LBB0_23
; %bb.22:
	ds_read_b128 v[0:3], v148 offset:2016
	ds_read_b128 v[4:7], v148 offset:4896
	;; [unrolled: 1-line block ×7, first 2 shown]
.LBB0_23:
	s_or_b64 exec, exec, s[2:3]
	s_waitcnt lgkmcnt(11)
	v_mul_f64 v[132:133], v[42:43], v[130:131]
	v_mul_f64 v[42:43], v[42:43], v[128:129]
	v_fmac_f64_e32 v[132:133], v[40:41], v[128:129]
	v_fma_f64 v[40:41], v[40:41], v[130:131], -v[42:43]
	s_waitcnt lgkmcnt(9)
	v_mul_f64 v[42:43], v[38:39], v[126:127]
	v_mul_f64 v[38:39], v[38:39], v[124:125]
	v_fmac_f64_e32 v[42:43], v[36:37], v[124:125]
	v_fma_f64 v[36:37], v[36:37], v[126:127], -v[38:39]
	;; [unrolled: 5-line block ×6, first 2 shown]
	v_mul_f64 v[108:109], v[66:67], v[106:107]
	v_mul_f64 v[46:47], v[66:67], v[104:105]
	v_fmac_f64_e32 v[108:109], v[64:65], v[104:105]
	v_fma_f64 v[64:65], v[64:65], v[106:107], -v[46:47]
	v_mul_f64 v[66:67], v[62:63], v[102:103]
	v_mul_f64 v[46:47], v[62:63], v[100:101]
	v_fmac_f64_e32 v[66:67], v[60:61], v[100:101]
	v_fma_f64 v[60:61], v[60:61], v[102:103], -v[46:47]
	;; [unrolled: 4-line block ×5, first 2 shown]
	s_waitcnt lgkmcnt(0)
	v_mul_f64 v[74:75], v[70:71], v[86:87]
	v_mul_f64 v[46:47], v[70:71], v[84:85]
	v_fmac_f64_e32 v[74:75], v[68:69], v[84:85]
	v_fma_f64 v[68:69], v[68:69], v[86:87], -v[46:47]
	v_add_f64 v[46:47], v[132:133], v[50:51]
	v_add_f64 v[70:71], v[40:41], v[44:45]
	v_add_f64 v[40:41], v[40:41], -v[44:45]
	v_add_f64 v[44:45], v[42:43], v[30:31]
	v_add_f64 v[84:85], v[36:37], v[48:49]
	v_add_f64 v[30:31], v[42:43], -v[30:31]
	v_add_f64 v[36:37], v[36:37], -v[48:49]
	v_add_f64 v[42:43], v[38:39], v[34:35]
	v_add_f64 v[48:49], v[32:33], v[28:29]
	v_add_f64 v[28:29], v[28:29], -v[32:33]
	v_add_f64 v[32:33], v[44:45], v[46:47]
	v_add_f64 v[34:35], v[34:35], -v[38:39]
	v_add_f64 v[38:39], v[84:85], v[70:71]
	v_add_f64 v[32:33], v[42:43], v[32:33]
	v_add_f64 v[50:51], v[132:133], -v[50:51]
	v_add_f64 v[38:39], v[48:49], v[38:39]
	v_add_f64 v[24:25], v[24:25], v[32:33]
	s_mov_b32 s10, 0x37e14327
	s_mov_b32 s14, 0x36b3c0b5
	;; [unrolled: 1-line block ×4, first 2 shown]
	v_add_f64 v[86:87], v[44:45], -v[46:47]
	v_add_f64 v[88:89], v[84:85], -v[70:71]
	;; [unrolled: 1-line block ×6, first 2 shown]
	v_add_f64 v[90:91], v[34:35], v[30:31]
	v_add_f64 v[92:93], v[28:29], v[36:37]
	v_add_f64 v[94:95], v[34:35], -v[30:31]
	v_add_f64 v[96:97], v[28:29], -v[36:37]
	;; [unrolled: 1-line block ×3, first 2 shown]
	v_add_f64 v[26:27], v[26:27], v[38:39]
	s_mov_b32 s11, 0x3fe948f6
	s_mov_b32 s15, 0x3fac98ee
	;; [unrolled: 1-line block ×4, first 2 shown]
	v_mov_b64_e32 v[98:99], v[24:25]
	s_mov_b32 s8, 0x5476071b
	s_mov_b32 s26, 0xb247c609
	v_add_f64 v[34:35], v[50:51], -v[34:35]
	v_add_f64 v[28:29], v[40:41], -v[28:29]
	;; [unrolled: 1-line block ×3, first 2 shown]
	v_add_f64 v[42:43], v[90:91], v[50:51]
	v_add_f64 v[40:41], v[92:93], v[40:41]
	v_mul_f64 v[46:47], v[46:47], s[10:11]
	v_mul_f64 v[48:49], v[70:71], s[10:11]
	;; [unrolled: 1-line block ×7, first 2 shown]
	v_fmac_f64_e32 v[98:99], s[24:25], v[32:33]
	v_mov_b64_e32 v[32:33], v[26:27]
	s_mov_b32 s9, 0x3fe77f67
	s_mov_b32 s18, s8
	;; [unrolled: 1-line block ×6, first 2 shown]
	v_mul_f64 v[96:97], v[36:37], s[2:3]
	v_fmac_f64_e32 v[32:33], s[24:25], v[38:39]
	v_fma_f64 v[38:39], v[86:87], s[8:9], -v[50:51]
	v_fma_f64 v[50:51], v[88:89], s[8:9], -v[70:71]
	;; [unrolled: 1-line block ×3, first 2 shown]
	v_fmac_f64_e32 v[46:47], s[14:15], v[44:45]
	v_fma_f64 v[44:45], v[88:89], s[18:19], -v[48:49]
	v_fmac_f64_e32 v[48:49], s[14:15], v[84:85]
	v_fma_f64 v[84:85], v[30:31], s[2:3], -v[90:91]
	v_fma_f64 v[86:87], v[36:37], s[2:3], -v[92:93]
	;; [unrolled: 1-line block ×3, first 2 shown]
	s_mov_b32 s21, 0xbfdc38aa
	v_fmac_f64_e32 v[90:91], s[26:27], v[34:35]
	v_fmac_f64_e32 v[92:93], s[26:27], v[28:29]
	v_fma_f64 v[94:95], v[28:29], s[22:23], -v[96:97]
	v_add_f64 v[96:97], v[46:47], v[98:99]
	v_add_f64 v[100:101], v[48:49], v[32:33]
	;; [unrolled: 1-line block ×6, first 2 shown]
	v_fmac_f64_e32 v[84:85], s[20:21], v[42:43]
	v_fmac_f64_e32 v[86:87], s[20:21], v[40:41]
	;; [unrolled: 1-line block ×6, first 2 shown]
	v_add_f64 v[34:35], v[70:71], -v[88:89]
	v_add_f64 v[36:37], v[46:47], -v[86:87]
	v_add_f64 v[38:39], v[84:85], v[48:49]
	v_add_f64 v[40:41], v[86:87], v[46:47]
	v_add_f64 v[42:43], v[48:49], -v[84:85]
	v_add_f64 v[46:47], v[88:89], v[70:71]
	v_add_f64 v[70:71], v[108:109], v[74:75]
	;; [unrolled: 1-line block ×3, first 2 shown]
	v_add_f64 v[64:65], v[64:65], -v[68:69]
	v_add_f64 v[68:69], v[66:67], v[54:55]
	v_add_f64 v[86:87], v[60:61], v[72:73]
	v_add_f64 v[54:55], v[66:67], -v[54:55]
	v_add_f64 v[60:61], v[60:61], -v[72:73]
	v_add_f64 v[66:67], v[62:63], v[58:59]
	v_add_f64 v[72:73], v[56:57], v[52:53]
	v_add_f64 v[52:53], v[52:53], -v[56:57]
	v_add_f64 v[56:57], v[68:69], v[70:71]
	v_add_f64 v[58:59], v[58:59], -v[62:63]
	v_add_f64 v[62:63], v[86:87], v[84:85]
	v_add_f64 v[56:57], v[66:67], v[56:57]
	v_add_f64 v[74:75], v[108:109], -v[74:75]
	v_add_f64 v[62:63], v[72:73], v[62:63]
	v_add_f64 v[20:21], v[20:21], v[56:57]
	;; [unrolled: 1-line block ×3, first 2 shown]
	v_add_f64 v[30:31], v[100:101], -v[90:91]
	v_add_f64 v[32:33], v[94:95], v[50:51]
	v_add_f64 v[44:45], v[50:51], -v[94:95]
	v_add_f64 v[48:49], v[96:97], -v[92:93]
	v_add_f64 v[50:51], v[90:91], v[100:101]
	v_add_f64 v[88:89], v[68:69], -v[70:71]
	v_add_f64 v[90:91], v[86:87], -v[84:85]
	;; [unrolled: 1-line block ×6, first 2 shown]
	v_add_f64 v[92:93], v[58:59], v[54:55]
	v_add_f64 v[94:95], v[52:53], v[60:61]
	v_add_f64 v[96:97], v[58:59], -v[54:55]
	v_add_f64 v[98:99], v[52:53], -v[60:61]
	;; [unrolled: 1-line block ×4, first 2 shown]
	v_add_f64 v[22:23], v[22:23], v[62:63]
	v_mov_b64_e32 v[100:101], v[20:21]
	v_add_f64 v[58:59], v[74:75], -v[58:59]
	v_add_f64 v[52:53], v[64:65], -v[52:53]
	v_add_f64 v[66:67], v[92:93], v[74:75]
	v_add_f64 v[64:65], v[94:95], v[64:65]
	v_mul_f64 v[70:71], v[70:71], s[10:11]
	v_mul_f64 v[72:73], v[84:85], s[10:11]
	;; [unrolled: 1-line block ×8, first 2 shown]
	v_fmac_f64_e32 v[100:101], s[24:25], v[56:57]
	v_mov_b64_e32 v[56:57], v[22:23]
	v_fmac_f64_e32 v[56:57], s[24:25], v[62:63]
	v_fma_f64 v[62:63], v[88:89], s[8:9], -v[74:75]
	v_fma_f64 v[74:75], v[90:91], s[8:9], -v[84:85]
	;; [unrolled: 1-line block ×3, first 2 shown]
	v_fmac_f64_e32 v[70:71], s[14:15], v[68:69]
	v_fma_f64 v[68:69], v[90:91], s[18:19], -v[72:73]
	v_fmac_f64_e32 v[72:73], s[14:15], v[86:87]
	v_fma_f64 v[86:87], v[54:55], s[2:3], -v[92:93]
	;; [unrolled: 2-line block ×4, first 2 shown]
	v_fma_f64 v[96:97], v[52:53], s[22:23], -v[98:99]
	v_add_f64 v[98:99], v[70:71], v[100:101]
	v_add_f64 v[102:103], v[72:73], v[56:57]
	;; [unrolled: 1-line block ×6, first 2 shown]
	v_fmac_f64_e32 v[92:93], s[20:21], v[66:67]
	v_fmac_f64_e32 v[94:95], s[20:21], v[64:65]
	;; [unrolled: 1-line block ×6, first 2 shown]
	v_add_f64 v[52:53], v[94:95], v[98:99]
	v_add_f64 v[54:55], v[102:103], -v[92:93]
	v_add_f64 v[56:57], v[96:97], v[74:75]
	v_add_f64 v[58:59], v[84:85], -v[90:91]
	v_add_f64 v[60:61], v[70:71], -v[88:89]
	v_add_f64 v[62:63], v[86:87], v[72:73]
	v_add_f64 v[64:65], v[88:89], v[70:71]
	v_add_f64 v[66:67], v[72:73], -v[86:87]
	v_add_f64 v[68:69], v[74:75], -v[96:97]
	v_add_f64 v[70:71], v[90:91], v[84:85]
	v_add_f64 v[72:73], v[98:99], -v[94:95]
	v_add_f64 v[74:75], v[92:93], v[102:103]
	ds_write_b128 v148, v[24:27]
	ds_write_b128 v148, v[28:31] offset:2880
	ds_write_b128 v148, v[32:35] offset:5760
	;; [unrolled: 1-line block ×13, first 2 shown]
	s_and_saveexec_b64 s[28:29], s[0:1]
	s_cbranch_execz .LBB0_25
; %bb.24:
	v_accvgpr_read_b32 v60, a240
	v_accvgpr_read_b32 v64, a248
	;; [unrolled: 1-line block ×12, first 2 shown]
	v_mul_f64 v[20:21], v[62:63], v[6:7]
	v_accvgpr_read_b32 v65, a249
	v_mul_f64 v[22:23], v[66:67], v[78:79]
	v_accvgpr_read_b32 v50, a224
	v_accvgpr_read_b32 v51, a225
	;; [unrolled: 1-line block ×5, first 2 shown]
	v_mul_f64 v[34:35], v[58:59], v[10:11]
	v_mul_f64 v[36:37], v[194:195], v[18:19]
	v_fmac_f64_e32 v[20:21], v[60:61], v[4:5]
	v_fmac_f64_e32 v[22:23], v[64:65], v[76:77]
	v_accvgpr_read_b32 v49, a223
	v_mul_f64 v[26:27], v[50:51], v[82:83]
	v_accvgpr_read_b32 v53, a227
	v_mul_f64 v[28:29], v[54:55], v[14:15]
	v_fmac_f64_e32 v[34:35], v[56:57], v[8:9]
	v_fmac_f64_e32 v[36:37], v[192:193], v[16:17]
	v_add_f64 v[24:25], v[20:21], -v[22:23]
	v_fmac_f64_e32 v[26:27], v[48:49], v[80:81]
	v_fmac_f64_e32 v[28:29], v[52:53], v[12:13]
	v_add_f64 v[20:21], v[20:21], v[22:23]
	v_add_f64 v[22:23], v[34:35], v[36:37]
	v_add_f64 v[30:31], v[26:27], -v[28:29]
	v_add_f64 v[38:39], v[34:35], -v[36:37]
	v_mul_f64 v[4:5], v[62:63], v[4:5]
	v_add_f64 v[34:35], v[22:23], v[20:21]
	v_add_f64 v[26:27], v[28:29], v[26:27]
	v_fma_f64 v[4:5], v[60:61], v[6:7], -v[4:5]
	v_mul_f64 v[6:7], v[194:195], v[16:17]
	v_add_f64 v[28:29], v[26:27], v[34:35]
	v_mul_f64 v[44:45], v[66:67], v[76:77]
	v_fma_f64 v[16:17], v[192:193], v[18:19], -v[6:7]
	v_mul_f64 v[6:7], v[58:59], v[8:9]
	v_mul_f64 v[12:13], v[54:55], v[12:13]
	v_add_f64 v[0:1], v[0:1], v[28:29]
	v_fma_f64 v[44:45], v[64:65], v[78:79], -v[44:45]
	v_fma_f64 v[8:9], v[56:57], v[10:11], -v[6:7]
	;; [unrolled: 1-line block ×3, first 2 shown]
	v_mul_f64 v[14:15], v[50:51], v[80:81]
	v_mov_b64_e32 v[34:35], v[0:1]
	v_add_f64 v[46:47], v[4:5], v[44:45]
	v_add_f64 v[10:11], v[8:9], v[16:17]
	v_fma_f64 v[14:15], v[48:49], v[82:83], -v[14:15]
	v_fmac_f64_e32 v[34:35], s[24:25], v[28:29]
	v_add_f64 v[28:29], v[20:21], -v[26:27]
	v_add_f64 v[6:7], v[10:11], v[46:47]
	v_add_f64 v[18:19], v[12:13], v[14:15]
	v_mul_f64 v[28:29], v[28:29], s[10:11]
	v_add_f64 v[26:27], v[26:27], -v[22:23]
	v_add_f64 v[6:7], v[18:19], v[6:7]
	v_mul_f64 v[36:37], v[26:27], s[14:15]
	v_fma_f64 v[26:27], s[14:15], v[26:27], v[28:29]
	v_add_f64 v[2:3], v[2:3], v[6:7]
	v_add_f64 v[54:55], v[26:27], v[34:35]
	v_add_f64 v[26:27], v[4:5], -v[44:45]
	v_add_f64 v[4:5], v[14:15], -v[12:13]
	;; [unrolled: 1-line block ×3, first 2 shown]
	v_mov_b64_e32 v[48:49], v[2:3]
	v_add_f64 v[14:15], v[4:5], -v[8:9]
	v_add_f64 v[20:21], v[22:23], -v[20:21]
	v_add_f64 v[32:33], v[24:25], -v[30:31]
	v_add_f64 v[40:41], v[30:31], -v[38:39]
	v_add_f64 v[30:31], v[30:31], v[38:39]
	v_fmac_f64_e32 v[48:49], s[24:25], v[6:7]
	v_add_f64 v[6:7], v[46:47], -v[18:19]
	v_mul_f64 v[16:17], v[14:15], s[16:17]
	v_add_f64 v[14:15], v[38:39], -v[24:25]
	v_fma_f64 v[22:23], v[20:21], s[18:19], -v[28:29]
	v_mul_f64 v[40:41], v[40:41], s[16:17]
	v_add_f64 v[30:31], v[30:31], v[24:25]
	v_mul_f64 v[50:51], v[6:7], s[10:11]
	v_add_f64 v[6:7], v[18:19], -v[10:11]
	v_mul_f64 v[24:25], v[14:15], s[2:3]
	v_add_f64 v[28:29], v[22:23], v[34:35]
	v_add_f64 v[22:23], v[8:9], -v[26:27]
	v_fma_f64 v[42:43], s[26:27], v[32:33], v[40:41]
	v_mul_f64 v[18:19], v[6:7], s[14:15]
	v_add_f64 v[12:13], v[26:27], -v[4:5]
	v_add_f64 v[4:5], v[4:5], v[8:9]
	v_fma_f64 v[24:25], v[32:33], s[22:23], -v[24:25]
	v_add_f64 v[32:33], v[10:11], -v[46:47]
	v_mul_f64 v[8:9], v[22:23], s[2:3]
	v_fma_f64 v[44:45], s[26:27], v[12:13], v[16:17]
	v_add_f64 v[56:57], v[4:5], v[26:27]
	v_fma_f64 v[26:27], v[12:13], s[22:23], -v[8:9]
	v_fma_f64 v[12:13], v[32:33], s[8:9], -v[18:19]
	v_fma_f64 v[6:7], s[14:15], v[6:7], v[50:51]
	v_fma_f64 v[10:11], v[32:33], s[18:19], -v[50:51]
	v_add_f64 v[18:19], v[12:13], v[48:49]
	v_fma_f64 v[32:33], v[14:15], s[2:3], -v[40:41]
	v_fma_f64 v[12:13], v[20:21], s[8:9], -v[36:37]
	;; [unrolled: 1-line block ×3, first 2 shown]
	v_fmac_f64_e32 v[42:43], s[20:21], v[30:31]
	v_add_f64 v[52:53], v[6:7], v[48:49]
	v_fmac_f64_e32 v[44:45], s[20:21], v[56:57]
	v_fmac_f64_e32 v[24:25], s[20:21], v[30:31]
	v_add_f64 v[38:39], v[10:11], v[48:49]
	v_fmac_f64_e32 v[26:27], s[20:21], v[56:57]
	;; [unrolled: 3-line block ×3, first 2 shown]
	v_add_f64 v[6:7], v[42:43], v[52:53]
	v_add_f64 v[4:5], v[54:55], -v[44:45]
	v_add_f64 v[10:11], v[24:25], v[38:39]
	v_add_f64 v[8:9], v[28:29], -v[26:27]
	v_add_f64 v[14:15], v[18:19], -v[32:33]
	v_add_f64 v[12:13], v[16:17], v[20:21]
	v_add_f64 v[18:19], v[32:33], v[18:19]
	v_add_f64 v[16:17], v[20:21], -v[16:17]
	v_add_f64 v[22:23], v[38:39], -v[24:25]
	v_add_f64 v[20:21], v[26:27], v[28:29]
	v_add_f64 v[26:27], v[52:53], -v[42:43]
	v_add_f64 v[24:25], v[44:45], v[54:55]
	ds_write_b128 v148, v[0:3] offset:2016
	ds_write_b128 v148, v[24:27] offset:4896
	;; [unrolled: 1-line block ×7, first 2 shown]
.LBB0_25:
	s_or_b64 exec, exec, s[28:29]
	s_waitcnt lgkmcnt(0)
	; wave barrier
	s_waitcnt lgkmcnt(0)
	ds_read_b128 v[0:3], v148
	v_accvgpr_read_b32 v6, a20
	v_mad_u64_u32 v[14:15], s[0:1], s6, v6, 0
	v_mov_b32_e32 v4, v15
	v_accvgpr_read_b32 v19, a11
	v_mad_u64_u32 v[4:5], s[0:1], s7, v6, v[4:5]
	v_accvgpr_read_b32 v18, a10
	v_mov_b32_e32 v15, v4
	ds_read_b128 v[4:7], v148 offset:1008
	v_accvgpr_read_b32 v17, a9
	v_accvgpr_read_b32 v16, a8
	s_waitcnt lgkmcnt(1)
	v_mul_f64 v[8:9], v[18:19], v[2:3]
	v_fmac_f64_e32 v[8:9], v[16:17], v[0:1]
	s_mov_b32 s0, 0x1a01a01a
	v_mul_f64 v[0:1], v[18:19], v[0:1]
	s_mov_b32 s1, 0x3f4a01a0
	v_fma_f64 v[0:1], v[16:17], v[2:3], -v[0:1]
	v_mad_u64_u32 v[16:17], s[2:3], s4, v150, 0
	v_mul_f64 v[10:11], v[0:1], s[0:1]
	v_mov_b32_e32 v0, v17
	v_mad_u64_u32 v[0:1], s[2:3], s5, v150, v[0:1]
	v_mov_b32_e32 v17, v0
	ds_read_b128 v[0:3], v148 offset:10080
	v_mov_b32_e32 v12, s12
	v_mov_b32_e32 v13, s13
	v_lshl_add_u64 v[12:13], v[14:15], 4, v[12:13]
	v_accvgpr_read_b32 v21, a3
	v_mul_f64 v[8:9], v[8:9], s[0:1]
	v_lshl_add_u64 v[16:17], v[16:17], 4, v[12:13]
	v_accvgpr_read_b32 v20, a2
	global_store_dwordx4 v[16:17], v[8:11], off
	ds_read_b128 v[8:11], v148 offset:11088
	v_accvgpr_read_b32 v19, a1
	v_accvgpr_read_b32 v18, a0
	s_waitcnt lgkmcnt(1)
	v_mul_f64 v[12:13], v[20:21], v[2:3]
	v_fmac_f64_e32 v[12:13], v[18:19], v[0:1]
	v_mul_f64 v[0:1], v[20:21], v[0:1]
	v_fma_f64 v[0:1], v[18:19], v[2:3], -v[0:1]
	v_mul_f64 v[14:15], v[0:1], s[0:1]
	v_mov_b32_e32 v0, 0x2760
	v_mad_u64_u32 v[16:17], s[2:3], s4, v0, v[16:17]
	s_mul_i32 s2, s5, 0x2760
	v_mul_f64 v[12:13], v[12:13], s[0:1]
	v_add_u32_e32 v17, s2, v17
	global_store_dwordx4 v[16:17], v[12:15], off
	v_mov_b32_e32 v1, 0xffffdc90
	s_mul_i32 s3, s5, 0xffffdc90
	v_accvgpr_read_b32 v12, a22
	v_accvgpr_read_b32 v14, a24
	;; [unrolled: 1-line block ×4, first 2 shown]
	v_mul_f64 v[2:3], v[14:15], v[6:7]
	v_fmac_f64_e32 v[2:3], v[12:13], v[4:5]
	v_mul_f64 v[4:5], v[14:15], v[4:5]
	v_fma_f64 v[4:5], v[12:13], v[6:7], -v[4:5]
	v_mad_u64_u32 v[12:13], s[6:7], s4, v1, v[16:17]
	s_sub_i32 s3, s3, s4
	v_accvgpr_read_b32 v14, a26
	v_mul_f64 v[2:3], v[2:3], s[0:1]
	v_mul_f64 v[4:5], v[4:5], s[0:1]
	v_add_u32_e32 v13, s3, v13
	v_accvgpr_read_b32 v16, a28
	v_accvgpr_read_b32 v17, a29
	global_store_dwordx4 v[12:13], v[2:5], off
	v_accvgpr_read_b32 v15, a27
	v_accvgpr_read_b32 v23, a7
	s_waitcnt lgkmcnt(0)
	v_mul_f64 v[2:3], v[16:17], v[10:11]
	v_fmac_f64_e32 v[2:3], v[14:15], v[8:9]
	v_mul_f64 v[4:5], v[16:17], v[8:9]
	ds_read_b128 v[6:9], v148 offset:2016
	v_fma_f64 v[4:5], v[14:15], v[10:11], -v[4:5]
	v_mad_u64_u32 v[14:15], s[6:7], s4, v0, v[12:13]
	v_accvgpr_read_b32 v19, a15
	v_mul_f64 v[2:3], v[2:3], s[0:1]
	v_mul_f64 v[4:5], v[4:5], s[0:1]
	v_add_u32_e32 v15, s2, v15
	v_accvgpr_read_b32 v18, a14
	global_store_dwordx4 v[14:15], v[2:5], off
	ds_read_b128 v[2:5], v148 offset:3024
	v_accvgpr_read_b32 v17, a13
	v_accvgpr_read_b32 v16, a12
	s_waitcnt lgkmcnt(1)
	v_mul_f64 v[10:11], v[18:19], v[8:9]
	v_fmac_f64_e32 v[10:11], v[16:17], v[6:7]
	v_mul_f64 v[6:7], v[18:19], v[6:7]
	v_fma_f64 v[6:7], v[16:17], v[8:9], -v[6:7]
	v_mul_f64 v[12:13], v[6:7], s[0:1]
	ds_read_b128 v[6:9], v148 offset:12096
	v_mad_u64_u32 v[18:19], s[6:7], s4, v1, v[14:15]
	v_mul_f64 v[10:11], v[10:11], s[0:1]
	v_add_u32_e32 v19, s3, v19
	v_accvgpr_read_b32 v22, a6
	global_store_dwordx4 v[18:19], v[10:13], off
	ds_read_b128 v[10:13], v148 offset:13104
	v_accvgpr_read_b32 v21, a5
	v_accvgpr_read_b32 v20, a4
	s_waitcnt lgkmcnt(1)
	v_mul_f64 v[14:15], v[22:23], v[8:9]
	v_fmac_f64_e32 v[14:15], v[20:21], v[6:7]
	v_mul_f64 v[6:7], v[22:23], v[6:7]
	v_fma_f64 v[6:7], v[20:21], v[8:9], -v[6:7]
	v_mad_u64_u32 v[18:19], s[6:7], s4, v0, v[18:19]
	v_mul_f64 v[14:15], v[14:15], s[0:1]
	v_mul_f64 v[16:17], v[6:7], s[0:1]
	v_add_u32_e32 v19, s2, v19
	global_store_dwordx4 v[18:19], v[14:17], off
	v_accvgpr_read_b32 v20, a70
	v_accvgpr_read_b32 v22, a72
	v_accvgpr_read_b32 v14, a30
	v_accvgpr_read_b32 v16, a32
	v_accvgpr_read_b32 v17, a33
	v_accvgpr_read_b32 v15, a31
	v_mul_f64 v[6:7], v[16:17], v[4:5]
	v_fmac_f64_e32 v[6:7], v[14:15], v[2:3]
	v_mul_f64 v[2:3], v[16:17], v[2:3]
	v_fma_f64 v[2:3], v[14:15], v[4:5], -v[2:3]
	v_mad_u64_u32 v[14:15], s[6:7], s4, v1, v[18:19]
	v_mul_f64 v[6:7], v[6:7], s[0:1]
	v_mul_f64 v[8:9], v[2:3], s[0:1]
	v_add_u32_e32 v15, s3, v15
	global_store_dwordx4 v[14:15], v[6:9], off
	v_mad_u64_u32 v[14:15], s[6:7], s4, v0, v[14:15]
	s_nop 0
	v_accvgpr_read_b32 v6, a78
	v_accvgpr_read_b32 v8, a80
	v_accvgpr_read_b32 v9, a81
	v_accvgpr_read_b32 v7, a79
	s_waitcnt lgkmcnt(0)
	v_mul_f64 v[2:3], v[8:9], v[12:13]
	v_mul_f64 v[4:5], v[8:9], v[10:11]
	v_fmac_f64_e32 v[2:3], v[6:7], v[10:11]
	v_fma_f64 v[4:5], v[6:7], v[12:13], -v[4:5]
	ds_read_b128 v[6:9], v148 offset:4032
	v_accvgpr_read_b32 v16, a74
	v_mul_f64 v[2:3], v[2:3], s[0:1]
	v_mul_f64 v[4:5], v[4:5], s[0:1]
	v_add_u32_e32 v15, s2, v15
	v_accvgpr_read_b32 v18, a76
	v_accvgpr_read_b32 v19, a77
	global_store_dwordx4 v[14:15], v[2:5], off
	ds_read_b128 v[2:5], v148 offset:5040
	v_accvgpr_read_b32 v17, a75
	s_waitcnt lgkmcnt(1)
	v_mul_f64 v[10:11], v[18:19], v[8:9]
	v_fmac_f64_e32 v[10:11], v[16:17], v[6:7]
	v_mul_f64 v[6:7], v[18:19], v[6:7]
	v_fma_f64 v[6:7], v[16:17], v[8:9], -v[6:7]
	v_mul_f64 v[12:13], v[6:7], s[0:1]
	ds_read_b128 v[6:9], v148 offset:14112
	v_mad_u64_u32 v[18:19], s[6:7], s4, v1, v[14:15]
	v_mul_f64 v[10:11], v[10:11], s[0:1]
	v_add_u32_e32 v19, s3, v19
	v_accvgpr_read_b32 v23, a73
	global_store_dwordx4 v[18:19], v[10:13], off
	ds_read_b128 v[10:13], v148 offset:15120
	v_accvgpr_read_b32 v21, a71
	s_waitcnt lgkmcnt(1)
	v_mul_f64 v[14:15], v[22:23], v[8:9]
	v_fmac_f64_e32 v[14:15], v[20:21], v[6:7]
	v_mul_f64 v[6:7], v[22:23], v[6:7]
	v_fma_f64 v[6:7], v[20:21], v[8:9], -v[6:7]
	v_mad_u64_u32 v[18:19], s[6:7], s4, v0, v[18:19]
	v_mul_f64 v[14:15], v[14:15], s[0:1]
	v_mul_f64 v[16:17], v[6:7], s[0:1]
	v_add_u32_e32 v19, s2, v19
	global_store_dwordx4 v[18:19], v[14:17], off
	v_accvgpr_read_b32 v20, a54
	v_accvgpr_read_b32 v22, a56
	v_accvgpr_read_b32 v14, a66
	v_accvgpr_read_b32 v16, a68
	v_accvgpr_read_b32 v17, a69
	v_accvgpr_read_b32 v15, a67
	v_mul_f64 v[6:7], v[16:17], v[4:5]
	v_fmac_f64_e32 v[6:7], v[14:15], v[2:3]
	v_mul_f64 v[2:3], v[16:17], v[2:3]
	v_fma_f64 v[2:3], v[14:15], v[4:5], -v[2:3]
	v_mad_u64_u32 v[14:15], s[6:7], s4, v1, v[18:19]
	v_mul_f64 v[6:7], v[6:7], s[0:1]
	v_mul_f64 v[8:9], v[2:3], s[0:1]
	v_add_u32_e32 v15, s3, v15
	global_store_dwordx4 v[14:15], v[6:9], off
	v_mad_u64_u32 v[14:15], s[6:7], s4, v0, v[14:15]
	s_nop 0
	v_accvgpr_read_b32 v6, a62
	v_accvgpr_read_b32 v8, a64
	v_accvgpr_read_b32 v9, a65
	v_accvgpr_read_b32 v7, a63
	s_waitcnt lgkmcnt(0)
	v_mul_f64 v[2:3], v[8:9], v[12:13]
	v_mul_f64 v[4:5], v[8:9], v[10:11]
	v_fmac_f64_e32 v[2:3], v[6:7], v[10:11]
	v_fma_f64 v[4:5], v[6:7], v[12:13], -v[4:5]
	ds_read_b128 v[6:9], v148 offset:6048
	v_accvgpr_read_b32 v16, a58
	v_mul_f64 v[2:3], v[2:3], s[0:1]
	v_mul_f64 v[4:5], v[4:5], s[0:1]
	v_add_u32_e32 v15, s2, v15
	v_accvgpr_read_b32 v18, a60
	v_accvgpr_read_b32 v19, a61
	global_store_dwordx4 v[14:15], v[2:5], off
	ds_read_b128 v[2:5], v148 offset:7056
	v_accvgpr_read_b32 v17, a59
	s_waitcnt lgkmcnt(1)
	v_mul_f64 v[10:11], v[18:19], v[8:9]
	v_fmac_f64_e32 v[10:11], v[16:17], v[6:7]
	v_mul_f64 v[6:7], v[18:19], v[6:7]
	v_fma_f64 v[6:7], v[16:17], v[8:9], -v[6:7]
	v_mul_f64 v[12:13], v[6:7], s[0:1]
	ds_read_b128 v[6:9], v148 offset:16128
	v_mad_u64_u32 v[18:19], s[6:7], s4, v1, v[14:15]
	v_mul_f64 v[10:11], v[10:11], s[0:1]
	v_add_u32_e32 v19, s3, v19
	v_accvgpr_read_b32 v23, a57
	global_store_dwordx4 v[18:19], v[10:13], off
	ds_read_b128 v[10:13], v148 offset:17136
	;; [unrolled: 60-line block ×3, first 2 shown]
	v_accvgpr_read_b32 v21, a35
	s_waitcnt lgkmcnt(1)
	v_mul_f64 v[14:15], v[22:23], v[8:9]
	v_fmac_f64_e32 v[14:15], v[20:21], v[6:7]
	v_mul_f64 v[6:7], v[22:23], v[6:7]
	v_fma_f64 v[6:7], v[20:21], v[8:9], -v[6:7]
	v_mad_u64_u32 v[18:19], s[6:7], s4, v0, v[18:19]
	v_mul_f64 v[14:15], v[14:15], s[0:1]
	v_mul_f64 v[16:17], v[6:7], s[0:1]
	v_add_u32_e32 v19, s2, v19
	global_store_dwordx4 v[18:19], v[14:17], off
	s_nop 1
	v_accvgpr_read_b32 v14, a16
	v_accvgpr_read_b32 v16, a18
	;; [unrolled: 1-line block ×4, first 2 shown]
	v_mul_f64 v[6:7], v[16:17], v[4:5]
	v_fmac_f64_e32 v[6:7], v[14:15], v[2:3]
	v_mul_f64 v[2:3], v[16:17], v[2:3]
	v_fma_f64 v[2:3], v[14:15], v[4:5], -v[2:3]
	v_mad_u64_u32 v[14:15], s[6:7], s4, v1, v[18:19]
	v_mul_f64 v[6:7], v[6:7], s[0:1]
	v_mul_f64 v[8:9], v[2:3], s[0:1]
	v_add_u32_e32 v15, s3, v15
	global_store_dwordx4 v[14:15], v[6:9], off
	s_nop 1
	v_accvgpr_read_b32 v6, a38
	v_accvgpr_read_b32 v8, a40
	;; [unrolled: 1-line block ×4, first 2 shown]
	s_waitcnt lgkmcnt(0)
	v_mul_f64 v[2:3], v[8:9], v[12:13]
	v_mul_f64 v[4:5], v[8:9], v[10:11]
	v_fmac_f64_e32 v[2:3], v[6:7], v[10:11]
	v_fma_f64 v[4:5], v[6:7], v[12:13], -v[4:5]
	v_mul_f64 v[2:3], v[2:3], s[0:1]
	v_mul_f64 v[4:5], v[4:5], s[0:1]
	v_mad_u64_u32 v[0:1], s[0:1], s4, v0, v[14:15]
	v_add_u32_e32 v1, s2, v1
	global_store_dwordx4 v[0:1], v[2:5], off
.LBB0_26:
	s_endpgm
	.section	.rodata,"a",@progbits
	.p2align	6, 0x0
	.amdhsa_kernel bluestein_single_back_len1260_dim1_dp_op_CI_CI
		.amdhsa_group_segment_fixed_size 20160
		.amdhsa_private_segment_fixed_size 12
		.amdhsa_kernarg_size 104
		.amdhsa_user_sgpr_count 2
		.amdhsa_user_sgpr_dispatch_ptr 0
		.amdhsa_user_sgpr_queue_ptr 0
		.amdhsa_user_sgpr_kernarg_segment_ptr 1
		.amdhsa_user_sgpr_dispatch_id 0
		.amdhsa_user_sgpr_kernarg_preload_length 0
		.amdhsa_user_sgpr_kernarg_preload_offset 0
		.amdhsa_user_sgpr_private_segment_size 0
		.amdhsa_uses_dynamic_stack 0
		.amdhsa_enable_private_segment 1
		.amdhsa_system_sgpr_workgroup_id_x 1
		.amdhsa_system_sgpr_workgroup_id_y 0
		.amdhsa_system_sgpr_workgroup_id_z 0
		.amdhsa_system_sgpr_workgroup_info 0
		.amdhsa_system_vgpr_workitem_id 0
		.amdhsa_next_free_vgpr 512
		.amdhsa_next_free_sgpr 30
		.amdhsa_accum_offset 256
		.amdhsa_reserve_vcc 1
		.amdhsa_float_round_mode_32 0
		.amdhsa_float_round_mode_16_64 0
		.amdhsa_float_denorm_mode_32 3
		.amdhsa_float_denorm_mode_16_64 3
		.amdhsa_dx10_clamp 1
		.amdhsa_ieee_mode 1
		.amdhsa_fp16_overflow 0
		.amdhsa_tg_split 0
		.amdhsa_exception_fp_ieee_invalid_op 0
		.amdhsa_exception_fp_denorm_src 0
		.amdhsa_exception_fp_ieee_div_zero 0
		.amdhsa_exception_fp_ieee_overflow 0
		.amdhsa_exception_fp_ieee_underflow 0
		.amdhsa_exception_fp_ieee_inexact 0
		.amdhsa_exception_int_div_zero 0
	.end_amdhsa_kernel
	.text
.Lfunc_end0:
	.size	bluestein_single_back_len1260_dim1_dp_op_CI_CI, .Lfunc_end0-bluestein_single_back_len1260_dim1_dp_op_CI_CI
                                        ; -- End function
	.section	.AMDGPU.csdata,"",@progbits
; Kernel info:
; codeLenInByte = 30356
; NumSgprs: 36
; NumVgprs: 256
; NumAgprs: 256
; TotalNumVgprs: 512
; ScratchSize: 12
; MemoryBound: 0
; FloatMode: 240
; IeeeMode: 1
; LDSByteSize: 20160 bytes/workgroup (compile time only)
; SGPRBlocks: 4
; VGPRBlocks: 63
; NumSGPRsForWavesPerEU: 36
; NumVGPRsForWavesPerEU: 512
; AccumOffset: 256
; Occupancy: 1
; WaveLimiterHint : 1
; COMPUTE_PGM_RSRC2:SCRATCH_EN: 1
; COMPUTE_PGM_RSRC2:USER_SGPR: 2
; COMPUTE_PGM_RSRC2:TRAP_HANDLER: 0
; COMPUTE_PGM_RSRC2:TGID_X_EN: 1
; COMPUTE_PGM_RSRC2:TGID_Y_EN: 0
; COMPUTE_PGM_RSRC2:TGID_Z_EN: 0
; COMPUTE_PGM_RSRC2:TIDIG_COMP_CNT: 0
; COMPUTE_PGM_RSRC3_GFX90A:ACCUM_OFFSET: 63
; COMPUTE_PGM_RSRC3_GFX90A:TG_SPLIT: 0
	.text
	.p2alignl 6, 3212836864
	.fill 256, 4, 3212836864
	.type	__hip_cuid_2f7e44687350f25a,@object ; @__hip_cuid_2f7e44687350f25a
	.section	.bss,"aw",@nobits
	.globl	__hip_cuid_2f7e44687350f25a
__hip_cuid_2f7e44687350f25a:
	.byte	0                               ; 0x0
	.size	__hip_cuid_2f7e44687350f25a, 1

	.ident	"AMD clang version 19.0.0git (https://github.com/RadeonOpenCompute/llvm-project roc-6.4.0 25133 c7fe45cf4b819c5991fe208aaa96edf142730f1d)"
	.section	".note.GNU-stack","",@progbits
	.addrsig
	.addrsig_sym __hip_cuid_2f7e44687350f25a
	.amdgpu_metadata
---
amdhsa.kernels:
  - .agpr_count:     256
    .args:
      - .actual_access:  read_only
        .address_space:  global
        .offset:         0
        .size:           8
        .value_kind:     global_buffer
      - .actual_access:  read_only
        .address_space:  global
        .offset:         8
        .size:           8
        .value_kind:     global_buffer
      - .actual_access:  read_only
        .address_space:  global
        .offset:         16
        .size:           8
        .value_kind:     global_buffer
      - .actual_access:  read_only
        .address_space:  global
        .offset:         24
        .size:           8
        .value_kind:     global_buffer
      - .actual_access:  read_only
        .address_space:  global
        .offset:         32
        .size:           8
        .value_kind:     global_buffer
      - .offset:         40
        .size:           8
        .value_kind:     by_value
      - .address_space:  global
        .offset:         48
        .size:           8
        .value_kind:     global_buffer
      - .address_space:  global
        .offset:         56
        .size:           8
        .value_kind:     global_buffer
      - .address_space:  global
        .offset:         64
        .size:           8
        .value_kind:     global_buffer
      - .address_space:  global
        .offset:         72
        .size:           8
        .value_kind:     global_buffer
      - .offset:         80
        .size:           4
        .value_kind:     by_value
      - .address_space:  global
        .offset:         88
        .size:           8
        .value_kind:     global_buffer
      - .address_space:  global
        .offset:         96
        .size:           8
        .value_kind:     global_buffer
    .group_segment_fixed_size: 20160
    .kernarg_segment_align: 8
    .kernarg_segment_size: 104
    .language:       OpenCL C
    .language_version:
      - 2
      - 0
    .max_flat_workgroup_size: 63
    .name:           bluestein_single_back_len1260_dim1_dp_op_CI_CI
    .private_segment_fixed_size: 12
    .sgpr_count:     36
    .sgpr_spill_count: 0
    .symbol:         bluestein_single_back_len1260_dim1_dp_op_CI_CI.kd
    .uniform_work_group_size: 1
    .uses_dynamic_stack: false
    .vgpr_count:     512
    .vgpr_spill_count: 2
    .wavefront_size: 64
amdhsa.target:   amdgcn-amd-amdhsa--gfx950
amdhsa.version:
  - 1
  - 2
...

	.end_amdgpu_metadata
